;; amdgpu-corpus repo=ROCm/rocSPARSE kind=compiled arch=gfx1250 opt=O3
	.amdgcn_target "amdgcn-amd-amdhsa--gfx1250"
	.amdhsa_code_object_version 6
	.section	.text._ZN9rocsparseL20extract_count_kernelILj1024EiiEEvT1_PKT0_PKS1_21rocsparse_index_base_b20rocsparse_diag_type_PS2_,"axG",@progbits,_ZN9rocsparseL20extract_count_kernelILj1024EiiEEvT1_PKT0_PKS1_21rocsparse_index_base_b20rocsparse_diag_type_PS2_,comdat
	.globl	_ZN9rocsparseL20extract_count_kernelILj1024EiiEEvT1_PKT0_PKS1_21rocsparse_index_base_b20rocsparse_diag_type_PS2_ ; -- Begin function _ZN9rocsparseL20extract_count_kernelILj1024EiiEEvT1_PKT0_PKS1_21rocsparse_index_base_b20rocsparse_diag_type_PS2_
	.p2align	8
	.type	_ZN9rocsparseL20extract_count_kernelILj1024EiiEEvT1_PKT0_PKS1_21rocsparse_index_base_b20rocsparse_diag_type_PS2_,@function
_ZN9rocsparseL20extract_count_kernelILj1024EiiEEvT1_PKT0_PKS1_21rocsparse_index_base_b20rocsparse_diag_type_PS2_: ; @_ZN9rocsparseL20extract_count_kernelILj1024EiiEEvT1_PKT0_PKS1_21rocsparse_index_base_b20rocsparse_diag_type_PS2_
; %bb.0:
	s_clause 0x1
	s_load_b32 s2, s[0:1], 0x3c
	s_load_b32 s3, s[0:1], 0x0
	s_bfe_u32 s4, ttmp6, 0x4000c
	s_and_b32 s5, ttmp6, 15
	s_add_co_i32 s4, s4, 1
	s_getreg_b32 s6, hwreg(HW_REG_IB_STS2, 6, 4)
	s_mul_i32 s4, ttmp9, s4
	s_delay_alu instid0(SALU_CYCLE_1) | instskip(SKIP_4) | instid1(SALU_CYCLE_1)
	s_add_co_i32 s5, s5, s4
	s_wait_kmcnt 0x0
	s_and_b32 s2, s2, 0xffff
	s_cmp_eq_u32 s6, 0
	s_cselect_b32 s4, ttmp9, s5
	v_mad_u32 v0, s4, s2, v0
	s_mov_b32 s2, exec_lo
	s_delay_alu instid0(VALU_DEP_1)
	v_cmpx_gt_i32_e64 s3, v0
	s_cbranch_execz .LBB0_23
; %bb.1:
	s_clause 0x1
	s_load_b64 s[2:3], s[0:1], 0x8
	s_load_b64 s[8:9], s[0:1], 0x28
	v_dual_mov_b32 v6, 0 :: v_dual_ashrrev_i32 v1, 31, v0
	s_wait_kmcnt 0x0
	s_delay_alu instid0(VALU_DEP_1)
	v_lshl_add_u64 v[2:3], v[0:1], 2, s[2:3]
	s_mov_b32 s3, exec_lo
	global_load_b64 v[4:5], v[2:3], off
	s_wait_loadcnt 0x0
	v_cmpx_lt_i32_e64 v4, v5
	s_cbranch_execz .LBB0_22
; %bb.2:
	s_clause 0x1
	s_load_b96 s[4:6], s[0:1], 0x18
	s_load_b64 s[10:11], s[0:1], 0x10
	s_wait_xcnt 0x0
	s_mov_b32 s1, -1
	v_mov_b32_e32 v6, 0
	s_wait_kmcnt 0x0
	v_subrev_nc_u32_e32 v8, s4, v5
	v_subrev_nc_u32_e32 v2, s4, v4
	s_bitcmp1_b32 s5, 0
	s_cselect_b32 s7, -1, 0
	s_cmp_eq_u32 s6, 1
	s_delay_alu instid0(VALU_DEP_1)
	v_add_max_i32_e64 v3, v2, 1, v8
	s_cselect_b32 s0, -1, 0
	s_cmp_lg_u32 s6, 1
	s_mov_b32 s6, exec_lo
	s_cselect_b32 s5, -1, 0
	v_add_nc_u32_e32 v3, s4, v3
	s_delay_alu instid0(VALU_DEP_1) | instskip(NEXT) | instid1(VALU_DEP_1)
	v_sub_nc_u32_e32 v5, v3, v4
	v_cmpx_lt_u32_e32 1, v5
	s_cbranch_execz .LBB0_6
; %bb.3:
	v_dual_mov_b32 v4, v0 :: v_dual_bitop2_b32 v9, -2, v5 bitop3:0x40
	v_dual_mov_b32 v3, v0 :: v_dual_mov_b32 v10, 0
	v_dual_mov_b32 v11, 0 :: v_dual_mov_b32 v6, v2
	s_delay_alu instid0(VALU_DEP_3)
	v_mov_b32_e32 v12, v9
	s_xor_b32 s1, s7, -1
	s_xor_b32 s2, s0, -1
	s_and_b32 s0, s1, s0
	s_and_b32 vcc_lo, s1, s2
	s_and_b32 s1, s7, s2
	s_mov_b32 s13, s4
	s_mov_b32 s12, 0
.LBB0_4:                                ; =>This Inner Loop Header: Depth=1
	v_dual_ashrrev_i32 v7, 31, v6 :: v_dual_add_nc_u32 v12, -2, v12
	s_delay_alu instid0(VALU_DEP_1)
	v_lshl_add_u64 v[14:15], v[6:7], 2, s[10:11]
	v_add_nc_u32_e32 v6, 2, v6
	global_load_b64 v[14:15], v[14:15], off
	s_wait_loadcnt 0x0
	v_subrev_nc_u32_e32 v7, s13, v15
	v_subrev_nc_u32_e32 v13, s4, v14
	s_delay_alu instid0(VALU_DEP_2) | instskip(NEXT) | instid1(VALU_DEP_1)
	v_cmp_ge_i32_e64 s2, v3, v7
	v_cndmask_b32_e64 v14, 0, 1, s2
	v_cmp_gt_i32_e64 s2, v3, v7
	s_delay_alu instid0(VALU_DEP_1) | instskip(SKIP_1) | instid1(VALU_DEP_1)
	v_cndmask_b32_e64 v15, 0, 1, s2
	v_cmp_ge_i32_e64 s2, v4, v13
	v_cndmask_b32_e64 v16, 0, 1, s2
	v_cmp_gt_i32_e64 s2, v4, v13
	s_delay_alu instid0(VALU_DEP_1) | instskip(SKIP_1) | instid1(VALU_DEP_1)
	v_cndmask_b32_e64 v17, 0, 1, s2
	v_cmp_lt_i32_e64 s2, v4, v13
	v_cndmask_b32_e64 v18, 0, 1, s2
	v_cmp_lt_i32_e64 s2, v3, v7
	s_delay_alu instid0(VALU_DEP_1) | instskip(SKIP_1) | instid1(VALU_DEP_1)
	v_cndmask_b32_e64 v19, 0, 1, s2
	v_cmp_le_i32_e64 s2, v3, v7
	v_cndmask_b32_e64 v7, 0, 1, s2
	v_cmp_le_i32_e64 s2, v4, v13
	s_delay_alu instid0(VALU_DEP_1) | instskip(SKIP_2) | instid1(VALU_DEP_2)
	v_cndmask_b32_e64 v13, 0, 1, s2
	v_dual_cndmask_b32 v14, v15, v14, s1 :: v_dual_cndmask_b32 v15, v17, v16, s1
	v_cmp_eq_u32_e64 s2, 0, v12
	v_cndmask_b32_e64 v15, v15, v18, s0
	s_or_b32 s12, s2, s12
	s_delay_alu instid0(VALU_DEP_1) | instskip(NEXT) | instid1(VALU_DEP_1)
	v_dual_cndmask_b32 v13, v15, v13, vcc_lo :: v_dual_cndmask_b32 v14, v14, v19, s0
	v_dual_cndmask_b32 v7, v14, v7, vcc_lo :: v_dual_bitop2_b32 v13, 1, v13 bitop3:0x40
	s_delay_alu instid0(VALU_DEP_1) | instskip(NEXT) | instid1(VALU_DEP_1)
	v_dual_add_nc_u32 v10, v10, v13 :: v_dual_bitop2_b32 v7, 1, v7 bitop3:0x40
	v_add_nc_u32_e32 v11, v11, v7
	s_and_not1_b32 exec_lo, exec_lo, s12
	s_cbranch_execnz .LBB0_4
; %bb.5:
	s_or_b32 exec_lo, exec_lo, s12
	v_cmp_ne_u32_e32 vcc_lo, v5, v9
	v_add_nc_u32_e32 v2, v2, v9
	v_add_nc_u32_e32 v6, v10, v11
	s_or_not1_b32 s1, vcc_lo, exec_lo
.LBB0_6:
	s_or_b32 exec_lo, exec_lo, s6
	s_and_saveexec_b32 s0, s1
	s_cbranch_execz .LBB0_21
; %bb.7:
	v_ashrrev_i32_e32 v3, 31, v2
	s_xor_b32 s2, s7, -1
	s_mov_b32 s1, 0
	s_delay_alu instid0(VALU_DEP_1)
	v_lshl_add_u64 v[4:5], v[2:3], 2, s[10:11]
	s_branch .LBB0_9
.LBB0_8:                                ;   in Loop: Header=BB0_9 Depth=1
	v_cndmask_b32_e64 v3, 0, 1, s6
	v_add_nc_u32_e32 v2, 1, v2
	v_add_nc_u64_e32 v[4:5], 4, v[4:5]
	s_delay_alu instid0(VALU_DEP_3) | instskip(NEXT) | instid1(VALU_DEP_3)
	v_add_nc_u32_e32 v6, v6, v3
	v_cmp_ge_i32_e32 vcc_lo, v2, v8
	s_or_b32 s1, vcc_lo, s1
	s_delay_alu instid0(SALU_CYCLE_1)
	s_and_not1_b32 exec_lo, exec_lo, s1
	s_cbranch_execz .LBB0_20
.LBB0_9:                                ; =>This Inner Loop Header: Depth=1
	global_load_b32 v3, v[4:5], off
	s_and_b32 vcc_lo, exec_lo, s2
	s_mov_b32 s7, -1
                                        ; implicit-def: $sgpr6
	s_wait_loadcnt 0x0
	v_subrev_nc_u32_e32 v3, s4, v3
	s_cbranch_vccz .LBB0_15
; %bb.10:                               ;   in Loop: Header=BB0_9 Depth=1
	s_and_b32 vcc_lo, exec_lo, s5
                                        ; implicit-def: $sgpr6
	s_cbranch_vccz .LBB0_12
; %bb.11:                               ;   in Loop: Header=BB0_9 Depth=1
	s_delay_alu instid0(VALU_DEP_1)
	v_cmp_le_i32_e64 s6, v0, v3
	s_mov_b32 s7, 0
.LBB0_12:                               ;   in Loop: Header=BB0_9 Depth=1
	s_delay_alu instid0(SALU_CYCLE_1)
	s_and_not1_b32 vcc_lo, exec_lo, s7
	s_cbranch_vccnz .LBB0_14
; %bb.13:                               ;   in Loop: Header=BB0_9 Depth=1
	v_cmp_lt_i32_e32 vcc_lo, v0, v3
	s_and_not1_b32 s6, s6, exec_lo
	s_and_b32 s7, vcc_lo, exec_lo
	s_delay_alu instid0(SALU_CYCLE_1)
	s_or_b32 s6, s6, s7
.LBB0_14:                               ;   in Loop: Header=BB0_9 Depth=1
	s_mov_b32 s7, 0
.LBB0_15:                               ;   in Loop: Header=BB0_9 Depth=1
	s_delay_alu instid0(SALU_CYCLE_1)
	s_and_not1_b32 vcc_lo, exec_lo, s7
	s_cbranch_vccnz .LBB0_8
; %bb.16:                               ;   in Loop: Header=BB0_9 Depth=1
	s_and_b32 vcc_lo, exec_lo, s5
	s_mov_b32 s7, -1
                                        ; implicit-def: $sgpr6
	s_cbranch_vccz .LBB0_18
; %bb.17:                               ;   in Loop: Header=BB0_9 Depth=1
	v_cmp_ge_i32_e64 s6, v0, v3
	s_mov_b32 s7, 0
.LBB0_18:                               ;   in Loop: Header=BB0_9 Depth=1
	s_delay_alu instid0(SALU_CYCLE_1)
	s_and_not1_b32 vcc_lo, exec_lo, s7
	s_cbranch_vccnz .LBB0_8
; %bb.19:                               ;   in Loop: Header=BB0_9 Depth=1
	v_cmp_gt_i32_e32 vcc_lo, v0, v3
	s_and_not1_b32 s6, s6, exec_lo
	s_and_b32 s7, vcc_lo, exec_lo
	s_delay_alu instid0(SALU_CYCLE_1)
	s_or_b32 s6, s6, s7
	s_branch .LBB0_8
.LBB0_20:
	s_or_b32 exec_lo, exec_lo, s1
.LBB0_21:
	s_delay_alu instid0(SALU_CYCLE_1)
	s_or_b32 exec_lo, exec_lo, s0
.LBB0_22:
	s_delay_alu instid0(SALU_CYCLE_1)
	s_or_b32 exec_lo, exec_lo, s3
	v_lshl_add_u64 v[0:1], v[0:1], 2, s[8:9]
	global_store_b32 v[0:1], v6, off offset:4
.LBB0_23:
	s_endpgm
	.section	.rodata,"a",@progbits
	.p2align	6, 0x0
	.amdhsa_kernel _ZN9rocsparseL20extract_count_kernelILj1024EiiEEvT1_PKT0_PKS1_21rocsparse_index_base_b20rocsparse_diag_type_PS2_
		.amdhsa_group_segment_fixed_size 0
		.amdhsa_private_segment_fixed_size 0
		.amdhsa_kernarg_size 304
		.amdhsa_user_sgpr_count 2
		.amdhsa_user_sgpr_dispatch_ptr 0
		.amdhsa_user_sgpr_queue_ptr 0
		.amdhsa_user_sgpr_kernarg_segment_ptr 1
		.amdhsa_user_sgpr_dispatch_id 0
		.amdhsa_user_sgpr_kernarg_preload_length 0
		.amdhsa_user_sgpr_kernarg_preload_offset 0
		.amdhsa_user_sgpr_private_segment_size 0
		.amdhsa_wavefront_size32 1
		.amdhsa_uses_dynamic_stack 0
		.amdhsa_enable_private_segment 0
		.amdhsa_system_sgpr_workgroup_id_x 1
		.amdhsa_system_sgpr_workgroup_id_y 0
		.amdhsa_system_sgpr_workgroup_id_z 0
		.amdhsa_system_sgpr_workgroup_info 0
		.amdhsa_system_vgpr_workitem_id 0
		.amdhsa_next_free_vgpr 20
		.amdhsa_next_free_sgpr 14
		.amdhsa_named_barrier_count 0
		.amdhsa_reserve_vcc 1
		.amdhsa_float_round_mode_32 0
		.amdhsa_float_round_mode_16_64 0
		.amdhsa_float_denorm_mode_32 3
		.amdhsa_float_denorm_mode_16_64 3
		.amdhsa_fp16_overflow 0
		.amdhsa_memory_ordered 1
		.amdhsa_forward_progress 1
		.amdhsa_inst_pref_size 8
		.amdhsa_round_robin_scheduling 0
		.amdhsa_exception_fp_ieee_invalid_op 0
		.amdhsa_exception_fp_denorm_src 0
		.amdhsa_exception_fp_ieee_div_zero 0
		.amdhsa_exception_fp_ieee_overflow 0
		.amdhsa_exception_fp_ieee_underflow 0
		.amdhsa_exception_fp_ieee_inexact 0
		.amdhsa_exception_int_div_zero 0
	.end_amdhsa_kernel
	.section	.text._ZN9rocsparseL20extract_count_kernelILj1024EiiEEvT1_PKT0_PKS1_21rocsparse_index_base_b20rocsparse_diag_type_PS2_,"axG",@progbits,_ZN9rocsparseL20extract_count_kernelILj1024EiiEEvT1_PKT0_PKS1_21rocsparse_index_base_b20rocsparse_diag_type_PS2_,comdat
.Lfunc_end0:
	.size	_ZN9rocsparseL20extract_count_kernelILj1024EiiEEvT1_PKT0_PKS1_21rocsparse_index_base_b20rocsparse_diag_type_PS2_, .Lfunc_end0-_ZN9rocsparseL20extract_count_kernelILj1024EiiEEvT1_PKT0_PKS1_21rocsparse_index_base_b20rocsparse_diag_type_PS2_
                                        ; -- End function
	.set _ZN9rocsparseL20extract_count_kernelILj1024EiiEEvT1_PKT0_PKS1_21rocsparse_index_base_b20rocsparse_diag_type_PS2_.num_vgpr, 20
	.set _ZN9rocsparseL20extract_count_kernelILj1024EiiEEvT1_PKT0_PKS1_21rocsparse_index_base_b20rocsparse_diag_type_PS2_.num_agpr, 0
	.set _ZN9rocsparseL20extract_count_kernelILj1024EiiEEvT1_PKT0_PKS1_21rocsparse_index_base_b20rocsparse_diag_type_PS2_.numbered_sgpr, 14
	.set _ZN9rocsparseL20extract_count_kernelILj1024EiiEEvT1_PKT0_PKS1_21rocsparse_index_base_b20rocsparse_diag_type_PS2_.num_named_barrier, 0
	.set _ZN9rocsparseL20extract_count_kernelILj1024EiiEEvT1_PKT0_PKS1_21rocsparse_index_base_b20rocsparse_diag_type_PS2_.private_seg_size, 0
	.set _ZN9rocsparseL20extract_count_kernelILj1024EiiEEvT1_PKT0_PKS1_21rocsparse_index_base_b20rocsparse_diag_type_PS2_.uses_vcc, 1
	.set _ZN9rocsparseL20extract_count_kernelILj1024EiiEEvT1_PKT0_PKS1_21rocsparse_index_base_b20rocsparse_diag_type_PS2_.uses_flat_scratch, 0
	.set _ZN9rocsparseL20extract_count_kernelILj1024EiiEEvT1_PKT0_PKS1_21rocsparse_index_base_b20rocsparse_diag_type_PS2_.has_dyn_sized_stack, 0
	.set _ZN9rocsparseL20extract_count_kernelILj1024EiiEEvT1_PKT0_PKS1_21rocsparse_index_base_b20rocsparse_diag_type_PS2_.has_recursion, 0
	.set _ZN9rocsparseL20extract_count_kernelILj1024EiiEEvT1_PKT0_PKS1_21rocsparse_index_base_b20rocsparse_diag_type_PS2_.has_indirect_call, 0
	.section	.AMDGPU.csdata,"",@progbits
; Kernel info:
; codeLenInByte = 944
; TotalNumSgprs: 16
; NumVgprs: 20
; ScratchSize: 0
; MemoryBound: 0
; FloatMode: 240
; IeeeMode: 1
; LDSByteSize: 0 bytes/workgroup (compile time only)
; SGPRBlocks: 0
; VGPRBlocks: 1
; NumSGPRsForWavesPerEU: 16
; NumVGPRsForWavesPerEU: 20
; NamedBarCnt: 0
; Occupancy: 16
; WaveLimiterHint : 0
; COMPUTE_PGM_RSRC2:SCRATCH_EN: 0
; COMPUTE_PGM_RSRC2:USER_SGPR: 2
; COMPUTE_PGM_RSRC2:TRAP_HANDLER: 0
; COMPUTE_PGM_RSRC2:TGID_X_EN: 1
; COMPUTE_PGM_RSRC2:TGID_Y_EN: 0
; COMPUTE_PGM_RSRC2:TGID_Z_EN: 0
; COMPUTE_PGM_RSRC2:TIDIG_COMP_CNT: 0
	.section	.text._ZN9rocsparseL23extract_grab_nnz_kernelIiiEEvT0_PKT_21rocsparse_index_base_Pl,"axG",@progbits,_ZN9rocsparseL23extract_grab_nnz_kernelIiiEEvT0_PKT_21rocsparse_index_base_Pl,comdat
	.globl	_ZN9rocsparseL23extract_grab_nnz_kernelIiiEEvT0_PKT_21rocsparse_index_base_Pl ; -- Begin function _ZN9rocsparseL23extract_grab_nnz_kernelIiiEEvT0_PKT_21rocsparse_index_base_Pl
	.p2align	8
	.type	_ZN9rocsparseL23extract_grab_nnz_kernelIiiEEvT0_PKT_21rocsparse_index_base_Pl,@function
_ZN9rocsparseL23extract_grab_nnz_kernelIiiEEvT0_PKT_21rocsparse_index_base_Pl: ; @_ZN9rocsparseL23extract_grab_nnz_kernelIiiEEvT0_PKT_21rocsparse_index_base_Pl
; %bb.0:
	s_clause 0x2
	s_load_b32 s2, s[0:1], 0x0
	s_load_b96 s[4:6], s[0:1], 0x8
	s_load_b64 s[8:9], s[0:1], 0x18
	s_wait_kmcnt 0x0
	s_ashr_i32 s3, s2, 31
	s_delay_alu instid0(SALU_CYCLE_1) | instskip(NEXT) | instid1(SALU_CYCLE_1)
	s_lshl_b64 s[0:1], s[2:3], 2
	s_add_nc_u64 s[0:1], s[4:5], s[0:1]
	s_load_b32 s0, s[0:1], 0x0
	s_wait_kmcnt 0x0
	s_sub_co_i32 s0, s0, s6
	s_delay_alu instid0(SALU_CYCLE_1) | instskip(SKIP_1) | instid1(SALU_CYCLE_1)
	v_dual_mov_b32 v2, 0 :: v_dual_mov_b32 v0, s0
	s_ashr_i32 s1, s0, 31
	v_mov_b32_e32 v1, s1
	global_store_b64 v2, v[0:1], s[8:9]
	s_endpgm
	.section	.rodata,"a",@progbits
	.p2align	6, 0x0
	.amdhsa_kernel _ZN9rocsparseL23extract_grab_nnz_kernelIiiEEvT0_PKT_21rocsparse_index_base_Pl
		.amdhsa_group_segment_fixed_size 0
		.amdhsa_private_segment_fixed_size 0
		.amdhsa_kernarg_size 32
		.amdhsa_user_sgpr_count 2
		.amdhsa_user_sgpr_dispatch_ptr 0
		.amdhsa_user_sgpr_queue_ptr 0
		.amdhsa_user_sgpr_kernarg_segment_ptr 1
		.amdhsa_user_sgpr_dispatch_id 0
		.amdhsa_user_sgpr_kernarg_preload_length 0
		.amdhsa_user_sgpr_kernarg_preload_offset 0
		.amdhsa_user_sgpr_private_segment_size 0
		.amdhsa_wavefront_size32 1
		.amdhsa_uses_dynamic_stack 0
		.amdhsa_enable_private_segment 0
		.amdhsa_system_sgpr_workgroup_id_x 1
		.amdhsa_system_sgpr_workgroup_id_y 0
		.amdhsa_system_sgpr_workgroup_id_z 0
		.amdhsa_system_sgpr_workgroup_info 0
		.amdhsa_system_vgpr_workitem_id 0
		.amdhsa_next_free_vgpr 3
		.amdhsa_next_free_sgpr 10
		.amdhsa_named_barrier_count 0
		.amdhsa_reserve_vcc 0
		.amdhsa_float_round_mode_32 0
		.amdhsa_float_round_mode_16_64 0
		.amdhsa_float_denorm_mode_32 3
		.amdhsa_float_denorm_mode_16_64 3
		.amdhsa_fp16_overflow 0
		.amdhsa_memory_ordered 1
		.amdhsa_forward_progress 1
		.amdhsa_inst_pref_size 1
		.amdhsa_round_robin_scheduling 0
		.amdhsa_exception_fp_ieee_invalid_op 0
		.amdhsa_exception_fp_denorm_src 0
		.amdhsa_exception_fp_ieee_div_zero 0
		.amdhsa_exception_fp_ieee_overflow 0
		.amdhsa_exception_fp_ieee_underflow 0
		.amdhsa_exception_fp_ieee_inexact 0
		.amdhsa_exception_int_div_zero 0
	.end_amdhsa_kernel
	.section	.text._ZN9rocsparseL23extract_grab_nnz_kernelIiiEEvT0_PKT_21rocsparse_index_base_Pl,"axG",@progbits,_ZN9rocsparseL23extract_grab_nnz_kernelIiiEEvT0_PKT_21rocsparse_index_base_Pl,comdat
.Lfunc_end1:
	.size	_ZN9rocsparseL23extract_grab_nnz_kernelIiiEEvT0_PKT_21rocsparse_index_base_Pl, .Lfunc_end1-_ZN9rocsparseL23extract_grab_nnz_kernelIiiEEvT0_PKT_21rocsparse_index_base_Pl
                                        ; -- End function
	.set _ZN9rocsparseL23extract_grab_nnz_kernelIiiEEvT0_PKT_21rocsparse_index_base_Pl.num_vgpr, 3
	.set _ZN9rocsparseL23extract_grab_nnz_kernelIiiEEvT0_PKT_21rocsparse_index_base_Pl.num_agpr, 0
	.set _ZN9rocsparseL23extract_grab_nnz_kernelIiiEEvT0_PKT_21rocsparse_index_base_Pl.numbered_sgpr, 10
	.set _ZN9rocsparseL23extract_grab_nnz_kernelIiiEEvT0_PKT_21rocsparse_index_base_Pl.num_named_barrier, 0
	.set _ZN9rocsparseL23extract_grab_nnz_kernelIiiEEvT0_PKT_21rocsparse_index_base_Pl.private_seg_size, 0
	.set _ZN9rocsparseL23extract_grab_nnz_kernelIiiEEvT0_PKT_21rocsparse_index_base_Pl.uses_vcc, 0
	.set _ZN9rocsparseL23extract_grab_nnz_kernelIiiEEvT0_PKT_21rocsparse_index_base_Pl.uses_flat_scratch, 0
	.set _ZN9rocsparseL23extract_grab_nnz_kernelIiiEEvT0_PKT_21rocsparse_index_base_Pl.has_dyn_sized_stack, 0
	.set _ZN9rocsparseL23extract_grab_nnz_kernelIiiEEvT0_PKT_21rocsparse_index_base_Pl.has_recursion, 0
	.set _ZN9rocsparseL23extract_grab_nnz_kernelIiiEEvT0_PKT_21rocsparse_index_base_Pl.has_indirect_call, 0
	.section	.AMDGPU.csdata,"",@progbits
; Kernel info:
; codeLenInByte = 104
; TotalNumSgprs: 10
; NumVgprs: 3
; ScratchSize: 0
; MemoryBound: 0
; FloatMode: 240
; IeeeMode: 1
; LDSByteSize: 0 bytes/workgroup (compile time only)
; SGPRBlocks: 0
; VGPRBlocks: 0
; NumSGPRsForWavesPerEU: 10
; NumVGPRsForWavesPerEU: 3
; NamedBarCnt: 0
; Occupancy: 16
; WaveLimiterHint : 0
; COMPUTE_PGM_RSRC2:SCRATCH_EN: 0
; COMPUTE_PGM_RSRC2:USER_SGPR: 2
; COMPUTE_PGM_RSRC2:TRAP_HANDLER: 0
; COMPUTE_PGM_RSRC2:TGID_X_EN: 1
; COMPUTE_PGM_RSRC2:TGID_Y_EN: 0
; COMPUTE_PGM_RSRC2:TGID_Z_EN: 0
; COMPUTE_PGM_RSRC2:TIDIG_COMP_CNT: 0
	.section	.text._ZN9rocsparseL20extract_count_kernelILj1024EilEEvT1_PKT0_PKS1_21rocsparse_index_base_b20rocsparse_diag_type_PS2_,"axG",@progbits,_ZN9rocsparseL20extract_count_kernelILj1024EilEEvT1_PKT0_PKS1_21rocsparse_index_base_b20rocsparse_diag_type_PS2_,comdat
	.globl	_ZN9rocsparseL20extract_count_kernelILj1024EilEEvT1_PKT0_PKS1_21rocsparse_index_base_b20rocsparse_diag_type_PS2_ ; -- Begin function _ZN9rocsparseL20extract_count_kernelILj1024EilEEvT1_PKT0_PKS1_21rocsparse_index_base_b20rocsparse_diag_type_PS2_
	.p2align	8
	.type	_ZN9rocsparseL20extract_count_kernelILj1024EilEEvT1_PKT0_PKS1_21rocsparse_index_base_b20rocsparse_diag_type_PS2_,@function
_ZN9rocsparseL20extract_count_kernelILj1024EilEEvT1_PKT0_PKS1_21rocsparse_index_base_b20rocsparse_diag_type_PS2_: ; @_ZN9rocsparseL20extract_count_kernelILj1024EilEEvT1_PKT0_PKS1_21rocsparse_index_base_b20rocsparse_diag_type_PS2_
; %bb.0:
	s_clause 0x1
	s_load_b32 s4, s[0:1], 0x3c
	s_load_b64 s[2:3], s[0:1], 0x0
	s_bfe_u32 s5, ttmp6, 0x4000c
	s_and_b32 s6, ttmp6, 15
	s_add_co_i32 s5, s5, 1
	s_getreg_b32 s7, hwreg(HW_REG_IB_STS2, 6, 4)
	s_mul_i32 s5, ttmp9, s5
	s_delay_alu instid0(SALU_CYCLE_1) | instskip(SKIP_4) | instid1(SALU_CYCLE_1)
	s_add_co_i32 s6, s6, s5
	s_wait_kmcnt 0x0
	s_and_b32 s4, s4, 0xffff
	s_cmp_eq_u32 s7, 0
	s_cselect_b32 s5, ttmp9, s6
	v_mad_u32 v0, s5, s4, v0
	s_delay_alu instid0(VALU_DEP_1) | instskip(NEXT) | instid1(VALU_DEP_1)
	v_ashrrev_i32_e32 v1, 31, v0
	v_cmp_gt_i64_e32 vcc_lo, s[2:3], v[0:1]
	s_and_saveexec_b32 s2, vcc_lo
	s_cbranch_execz .LBB2_17
; %bb.1:
	s_load_b64 s[2:3], s[0:1], 0x8
	s_wait_kmcnt 0x0
	v_lshl_add_u64 v[2:3], v[0:1], 2, s[2:3]
	s_mov_b32 s2, exec_lo
	global_load_b64 v[4:5], v[2:3], off
	s_wait_xcnt 0x0
	v_mov_b32_e32 v3, 0
	s_wait_loadcnt 0x0
	v_cmpx_lt_i32_e64 v4, v5
	s_cbranch_execz .LBB2_16
; %bb.2:
	s_clause 0x1
	s_load_b96 s[4:6], s[0:1], 0x18
	s_load_b64 s[8:9], s[0:1], 0x10
	s_wait_kmcnt 0x0
	v_subrev_nc_u32_e32 v2, s4, v4
	s_bitcmp1_b32 s5, 0
	v_subrev_nc_u32_e32 v8, s4, v5
	s_cselect_b32 s3, -1, 0
	s_mov_b32 s5, 0
	v_ashrrev_i32_e32 v3, 31, v2
	s_xor_b32 s3, s3, -1
	s_cmp_lg_u32 s6, 1
	s_mov_b32 s6, s5
	s_cselect_b32 s7, -1, 0
	v_lshl_add_u64 v[4:5], v[2:3], 3, s[8:9]
	v_mov_b32_e32 v3, 0
	s_branch .LBB2_4
.LBB2_3:                                ;   in Loop: Header=BB2_4 Depth=1
	v_add_nc_u32_e32 v2, 1, v2
	v_cndmask_b32_e64 v6, 0, 1, s8
	v_add_nc_u64_e32 v[4:5], 8, v[4:5]
	s_delay_alu instid0(VALU_DEP_3) | instskip(NEXT) | instid1(VALU_DEP_3)
	v_cmp_ge_i32_e32 vcc_lo, v2, v8
	v_add_nc_u32_e32 v3, v3, v6
	s_or_b32 s6, vcc_lo, s6
	s_delay_alu instid0(SALU_CYCLE_1)
	s_and_not1_b32 exec_lo, exec_lo, s6
	s_cbranch_execz .LBB2_15
.LBB2_4:                                ; =>This Inner Loop Header: Depth=1
	global_load_b64 v[6:7], v[4:5], off
	s_and_b32 vcc_lo, exec_lo, s3
	s_mov_b32 s9, -1
                                        ; implicit-def: $sgpr8
	s_wait_loadcnt 0x0
	v_sub_nc_u64_e64 v[6:7], v[6:7], s[4:5]
	s_cbranch_vccz .LBB2_10
; %bb.5:                                ;   in Loop: Header=BB2_4 Depth=1
	s_and_b32 vcc_lo, exec_lo, s7
                                        ; implicit-def: $sgpr8
	s_cbranch_vccz .LBB2_7
; %bb.6:                                ;   in Loop: Header=BB2_4 Depth=1
	s_delay_alu instid0(VALU_DEP_1)
	v_cmp_ge_i64_e64 s8, v[6:7], v[0:1]
	s_mov_b32 s9, 0
.LBB2_7:                                ;   in Loop: Header=BB2_4 Depth=1
	s_delay_alu instid0(SALU_CYCLE_1)
	s_and_not1_b32 vcc_lo, exec_lo, s9
	s_cbranch_vccnz .LBB2_9
; %bb.8:                                ;   in Loop: Header=BB2_4 Depth=1
	s_delay_alu instid0(VALU_DEP_1) | instskip(SKIP_2) | instid1(SALU_CYCLE_1)
	v_cmp_gt_i64_e32 vcc_lo, v[6:7], v[0:1]
	s_and_not1_b32 s8, s8, exec_lo
	s_and_b32 s9, vcc_lo, exec_lo
	s_or_b32 s8, s8, s9
.LBB2_9:                                ;   in Loop: Header=BB2_4 Depth=1
	s_mov_b32 s9, 0
.LBB2_10:                               ;   in Loop: Header=BB2_4 Depth=1
	s_delay_alu instid0(SALU_CYCLE_1)
	s_and_not1_b32 vcc_lo, exec_lo, s9
	s_cbranch_vccnz .LBB2_3
; %bb.11:                               ;   in Loop: Header=BB2_4 Depth=1
	s_and_b32 vcc_lo, exec_lo, s7
	s_mov_b32 s9, -1
                                        ; implicit-def: $sgpr8
	s_cbranch_vccz .LBB2_13
; %bb.12:                               ;   in Loop: Header=BB2_4 Depth=1
	v_cmp_le_i64_e64 s8, v[6:7], v[0:1]
	s_mov_b32 s9, 0
.LBB2_13:                               ;   in Loop: Header=BB2_4 Depth=1
	s_delay_alu instid0(SALU_CYCLE_1)
	s_and_not1_b32 vcc_lo, exec_lo, s9
	s_cbranch_vccnz .LBB2_3
; %bb.14:                               ;   in Loop: Header=BB2_4 Depth=1
	v_cmp_lt_i64_e32 vcc_lo, v[6:7], v[0:1]
	s_and_not1_b32 s8, s8, exec_lo
	s_and_b32 s9, vcc_lo, exec_lo
	s_delay_alu instid0(SALU_CYCLE_1)
	s_or_b32 s8, s8, s9
	s_branch .LBB2_3
.LBB2_15:
	s_or_b32 exec_lo, exec_lo, s6
.LBB2_16:
	s_delay_alu instid0(SALU_CYCLE_1)
	s_or_b32 exec_lo, exec_lo, s2
	s_load_b64 s[0:1], s[0:1], 0x28
	s_wait_kmcnt 0x0
	v_lshl_add_u64 v[0:1], v[0:1], 2, s[0:1]
	global_store_b32 v[0:1], v3, off offset:4
.LBB2_17:
	s_endpgm
	.section	.rodata,"a",@progbits
	.p2align	6, 0x0
	.amdhsa_kernel _ZN9rocsparseL20extract_count_kernelILj1024EilEEvT1_PKT0_PKS1_21rocsparse_index_base_b20rocsparse_diag_type_PS2_
		.amdhsa_group_segment_fixed_size 0
		.amdhsa_private_segment_fixed_size 0
		.amdhsa_kernarg_size 304
		.amdhsa_user_sgpr_count 2
		.amdhsa_user_sgpr_dispatch_ptr 0
		.amdhsa_user_sgpr_queue_ptr 0
		.amdhsa_user_sgpr_kernarg_segment_ptr 1
		.amdhsa_user_sgpr_dispatch_id 0
		.amdhsa_user_sgpr_kernarg_preload_length 0
		.amdhsa_user_sgpr_kernarg_preload_offset 0
		.amdhsa_user_sgpr_private_segment_size 0
		.amdhsa_wavefront_size32 1
		.amdhsa_uses_dynamic_stack 0
		.amdhsa_enable_private_segment 0
		.amdhsa_system_sgpr_workgroup_id_x 1
		.amdhsa_system_sgpr_workgroup_id_y 0
		.amdhsa_system_sgpr_workgroup_id_z 0
		.amdhsa_system_sgpr_workgroup_info 0
		.amdhsa_system_vgpr_workitem_id 0
		.amdhsa_next_free_vgpr 9
		.amdhsa_next_free_sgpr 10
		.amdhsa_named_barrier_count 0
		.amdhsa_reserve_vcc 1
		.amdhsa_float_round_mode_32 0
		.amdhsa_float_round_mode_16_64 0
		.amdhsa_float_denorm_mode_32 3
		.amdhsa_float_denorm_mode_16_64 3
		.amdhsa_fp16_overflow 0
		.amdhsa_memory_ordered 1
		.amdhsa_forward_progress 1
		.amdhsa_inst_pref_size 4
		.amdhsa_round_robin_scheduling 0
		.amdhsa_exception_fp_ieee_invalid_op 0
		.amdhsa_exception_fp_denorm_src 0
		.amdhsa_exception_fp_ieee_div_zero 0
		.amdhsa_exception_fp_ieee_overflow 0
		.amdhsa_exception_fp_ieee_underflow 0
		.amdhsa_exception_fp_ieee_inexact 0
		.amdhsa_exception_int_div_zero 0
	.end_amdhsa_kernel
	.section	.text._ZN9rocsparseL20extract_count_kernelILj1024EilEEvT1_PKT0_PKS1_21rocsparse_index_base_b20rocsparse_diag_type_PS2_,"axG",@progbits,_ZN9rocsparseL20extract_count_kernelILj1024EilEEvT1_PKT0_PKS1_21rocsparse_index_base_b20rocsparse_diag_type_PS2_,comdat
.Lfunc_end2:
	.size	_ZN9rocsparseL20extract_count_kernelILj1024EilEEvT1_PKT0_PKS1_21rocsparse_index_base_b20rocsparse_diag_type_PS2_, .Lfunc_end2-_ZN9rocsparseL20extract_count_kernelILj1024EilEEvT1_PKT0_PKS1_21rocsparse_index_base_b20rocsparse_diag_type_PS2_
                                        ; -- End function
	.set _ZN9rocsparseL20extract_count_kernelILj1024EilEEvT1_PKT0_PKS1_21rocsparse_index_base_b20rocsparse_diag_type_PS2_.num_vgpr, 9
	.set _ZN9rocsparseL20extract_count_kernelILj1024EilEEvT1_PKT0_PKS1_21rocsparse_index_base_b20rocsparse_diag_type_PS2_.num_agpr, 0
	.set _ZN9rocsparseL20extract_count_kernelILj1024EilEEvT1_PKT0_PKS1_21rocsparse_index_base_b20rocsparse_diag_type_PS2_.numbered_sgpr, 10
	.set _ZN9rocsparseL20extract_count_kernelILj1024EilEEvT1_PKT0_PKS1_21rocsparse_index_base_b20rocsparse_diag_type_PS2_.num_named_barrier, 0
	.set _ZN9rocsparseL20extract_count_kernelILj1024EilEEvT1_PKT0_PKS1_21rocsparse_index_base_b20rocsparse_diag_type_PS2_.private_seg_size, 0
	.set _ZN9rocsparseL20extract_count_kernelILj1024EilEEvT1_PKT0_PKS1_21rocsparse_index_base_b20rocsparse_diag_type_PS2_.uses_vcc, 1
	.set _ZN9rocsparseL20extract_count_kernelILj1024EilEEvT1_PKT0_PKS1_21rocsparse_index_base_b20rocsparse_diag_type_PS2_.uses_flat_scratch, 0
	.set _ZN9rocsparseL20extract_count_kernelILj1024EilEEvT1_PKT0_PKS1_21rocsparse_index_base_b20rocsparse_diag_type_PS2_.has_dyn_sized_stack, 0
	.set _ZN9rocsparseL20extract_count_kernelILj1024EilEEvT1_PKT0_PKS1_21rocsparse_index_base_b20rocsparse_diag_type_PS2_.has_recursion, 0
	.set _ZN9rocsparseL20extract_count_kernelILj1024EilEEvT1_PKT0_PKS1_21rocsparse_index_base_b20rocsparse_diag_type_PS2_.has_indirect_call, 0
	.section	.AMDGPU.csdata,"",@progbits
; Kernel info:
; codeLenInByte = 500
; TotalNumSgprs: 12
; NumVgprs: 9
; ScratchSize: 0
; MemoryBound: 0
; FloatMode: 240
; IeeeMode: 1
; LDSByteSize: 0 bytes/workgroup (compile time only)
; SGPRBlocks: 0
; VGPRBlocks: 0
; NumSGPRsForWavesPerEU: 12
; NumVGPRsForWavesPerEU: 9
; NamedBarCnt: 0
; Occupancy: 16
; WaveLimiterHint : 0
; COMPUTE_PGM_RSRC2:SCRATCH_EN: 0
; COMPUTE_PGM_RSRC2:USER_SGPR: 2
; COMPUTE_PGM_RSRC2:TRAP_HANDLER: 0
; COMPUTE_PGM_RSRC2:TGID_X_EN: 1
; COMPUTE_PGM_RSRC2:TGID_Y_EN: 0
; COMPUTE_PGM_RSRC2:TGID_Z_EN: 0
; COMPUTE_PGM_RSRC2:TIDIG_COMP_CNT: 0
	.section	.text._ZN9rocsparseL23extract_grab_nnz_kernelIilEEvT0_PKT_21rocsparse_index_base_Pl,"axG",@progbits,_ZN9rocsparseL23extract_grab_nnz_kernelIilEEvT0_PKT_21rocsparse_index_base_Pl,comdat
	.globl	_ZN9rocsparseL23extract_grab_nnz_kernelIilEEvT0_PKT_21rocsparse_index_base_Pl ; -- Begin function _ZN9rocsparseL23extract_grab_nnz_kernelIilEEvT0_PKT_21rocsparse_index_base_Pl
	.p2align	8
	.type	_ZN9rocsparseL23extract_grab_nnz_kernelIilEEvT0_PKT_21rocsparse_index_base_Pl,@function
_ZN9rocsparseL23extract_grab_nnz_kernelIilEEvT0_PKT_21rocsparse_index_base_Pl: ; @_ZN9rocsparseL23extract_grab_nnz_kernelIilEEvT0_PKT_21rocsparse_index_base_Pl
; %bb.0:
	s_clause 0x1
	s_load_b128 s[4:7], s[0:1], 0x0
	s_load_b32 s8, s[0:1], 0x10
	s_wait_kmcnt 0x0
	s_lshl_b64 s[2:3], s[4:5], 2
	s_delay_alu instid0(SALU_CYCLE_1) | instskip(SKIP_4) | instid1(SALU_CYCLE_1)
	s_add_nc_u64 s[2:3], s[6:7], s[2:3]
	s_load_b32 s6, s[2:3], 0x0
	s_load_b64 s[4:5], s[0:1], 0x18
	s_wait_kmcnt 0x0
	s_sub_co_i32 s0, s6, s8
	v_dual_mov_b32 v2, 0 :: v_dual_mov_b32 v0, s0
	s_ashr_i32 s1, s0, 31
	s_delay_alu instid0(SALU_CYCLE_1)
	v_mov_b32_e32 v1, s1
	global_store_b64 v2, v[0:1], s[4:5]
	s_endpgm
	.section	.rodata,"a",@progbits
	.p2align	6, 0x0
	.amdhsa_kernel _ZN9rocsparseL23extract_grab_nnz_kernelIilEEvT0_PKT_21rocsparse_index_base_Pl
		.amdhsa_group_segment_fixed_size 0
		.amdhsa_private_segment_fixed_size 0
		.amdhsa_kernarg_size 32
		.amdhsa_user_sgpr_count 2
		.amdhsa_user_sgpr_dispatch_ptr 0
		.amdhsa_user_sgpr_queue_ptr 0
		.amdhsa_user_sgpr_kernarg_segment_ptr 1
		.amdhsa_user_sgpr_dispatch_id 0
		.amdhsa_user_sgpr_kernarg_preload_length 0
		.amdhsa_user_sgpr_kernarg_preload_offset 0
		.amdhsa_user_sgpr_private_segment_size 0
		.amdhsa_wavefront_size32 1
		.amdhsa_uses_dynamic_stack 0
		.amdhsa_enable_private_segment 0
		.amdhsa_system_sgpr_workgroup_id_x 1
		.amdhsa_system_sgpr_workgroup_id_y 0
		.amdhsa_system_sgpr_workgroup_id_z 0
		.amdhsa_system_sgpr_workgroup_info 0
		.amdhsa_system_vgpr_workitem_id 0
		.amdhsa_next_free_vgpr 3
		.amdhsa_next_free_sgpr 9
		.amdhsa_named_barrier_count 0
		.amdhsa_reserve_vcc 0
		.amdhsa_float_round_mode_32 0
		.amdhsa_float_round_mode_16_64 0
		.amdhsa_float_denorm_mode_32 3
		.amdhsa_float_denorm_mode_16_64 3
		.amdhsa_fp16_overflow 0
		.amdhsa_memory_ordered 1
		.amdhsa_forward_progress 1
		.amdhsa_inst_pref_size 1
		.amdhsa_round_robin_scheduling 0
		.amdhsa_exception_fp_ieee_invalid_op 0
		.amdhsa_exception_fp_denorm_src 0
		.amdhsa_exception_fp_ieee_div_zero 0
		.amdhsa_exception_fp_ieee_overflow 0
		.amdhsa_exception_fp_ieee_underflow 0
		.amdhsa_exception_fp_ieee_inexact 0
		.amdhsa_exception_int_div_zero 0
	.end_amdhsa_kernel
	.section	.text._ZN9rocsparseL23extract_grab_nnz_kernelIilEEvT0_PKT_21rocsparse_index_base_Pl,"axG",@progbits,_ZN9rocsparseL23extract_grab_nnz_kernelIilEEvT0_PKT_21rocsparse_index_base_Pl,comdat
.Lfunc_end3:
	.size	_ZN9rocsparseL23extract_grab_nnz_kernelIilEEvT0_PKT_21rocsparse_index_base_Pl, .Lfunc_end3-_ZN9rocsparseL23extract_grab_nnz_kernelIilEEvT0_PKT_21rocsparse_index_base_Pl
                                        ; -- End function
	.set _ZN9rocsparseL23extract_grab_nnz_kernelIilEEvT0_PKT_21rocsparse_index_base_Pl.num_vgpr, 3
	.set _ZN9rocsparseL23extract_grab_nnz_kernelIilEEvT0_PKT_21rocsparse_index_base_Pl.num_agpr, 0
	.set _ZN9rocsparseL23extract_grab_nnz_kernelIilEEvT0_PKT_21rocsparse_index_base_Pl.numbered_sgpr, 9
	.set _ZN9rocsparseL23extract_grab_nnz_kernelIilEEvT0_PKT_21rocsparse_index_base_Pl.num_named_barrier, 0
	.set _ZN9rocsparseL23extract_grab_nnz_kernelIilEEvT0_PKT_21rocsparse_index_base_Pl.private_seg_size, 0
	.set _ZN9rocsparseL23extract_grab_nnz_kernelIilEEvT0_PKT_21rocsparse_index_base_Pl.uses_vcc, 0
	.set _ZN9rocsparseL23extract_grab_nnz_kernelIilEEvT0_PKT_21rocsparse_index_base_Pl.uses_flat_scratch, 0
	.set _ZN9rocsparseL23extract_grab_nnz_kernelIilEEvT0_PKT_21rocsparse_index_base_Pl.has_dyn_sized_stack, 0
	.set _ZN9rocsparseL23extract_grab_nnz_kernelIilEEvT0_PKT_21rocsparse_index_base_Pl.has_recursion, 0
	.set _ZN9rocsparseL23extract_grab_nnz_kernelIilEEvT0_PKT_21rocsparse_index_base_Pl.has_indirect_call, 0
	.section	.AMDGPU.csdata,"",@progbits
; Kernel info:
; codeLenInByte = 100
; TotalNumSgprs: 9
; NumVgprs: 3
; ScratchSize: 0
; MemoryBound: 1
; FloatMode: 240
; IeeeMode: 1
; LDSByteSize: 0 bytes/workgroup (compile time only)
; SGPRBlocks: 0
; VGPRBlocks: 0
; NumSGPRsForWavesPerEU: 9
; NumVGPRsForWavesPerEU: 3
; NamedBarCnt: 0
; Occupancy: 16
; WaveLimiterHint : 1
; COMPUTE_PGM_RSRC2:SCRATCH_EN: 0
; COMPUTE_PGM_RSRC2:USER_SGPR: 2
; COMPUTE_PGM_RSRC2:TRAP_HANDLER: 0
; COMPUTE_PGM_RSRC2:TGID_X_EN: 1
; COMPUTE_PGM_RSRC2:TGID_Y_EN: 0
; COMPUTE_PGM_RSRC2:TGID_Z_EN: 0
; COMPUTE_PGM_RSRC2:TIDIG_COMP_CNT: 0
	.section	.text._ZN9rocsparseL20extract_count_kernelILj1024EliEEvT1_PKT0_PKS1_21rocsparse_index_base_b20rocsparse_diag_type_PS2_,"axG",@progbits,_ZN9rocsparseL20extract_count_kernelILj1024EliEEvT1_PKT0_PKS1_21rocsparse_index_base_b20rocsparse_diag_type_PS2_,comdat
	.globl	_ZN9rocsparseL20extract_count_kernelILj1024EliEEvT1_PKT0_PKS1_21rocsparse_index_base_b20rocsparse_diag_type_PS2_ ; -- Begin function _ZN9rocsparseL20extract_count_kernelILj1024EliEEvT1_PKT0_PKS1_21rocsparse_index_base_b20rocsparse_diag_type_PS2_
	.p2align	8
	.type	_ZN9rocsparseL20extract_count_kernelILj1024EliEEvT1_PKT0_PKS1_21rocsparse_index_base_b20rocsparse_diag_type_PS2_,@function
_ZN9rocsparseL20extract_count_kernelILj1024EliEEvT1_PKT0_PKS1_21rocsparse_index_base_b20rocsparse_diag_type_PS2_: ; @_ZN9rocsparseL20extract_count_kernelILj1024EliEEvT1_PKT0_PKS1_21rocsparse_index_base_b20rocsparse_diag_type_PS2_
; %bb.0:
	s_clause 0x1
	s_load_b32 s2, s[0:1], 0x0
	s_load_b32 s4, s[0:1], 0x3c
	s_bfe_u32 s3, ttmp6, 0x4000c
	s_and_b32 s5, ttmp6, 15
	s_add_co_i32 s3, s3, 1
	s_getreg_b32 s6, hwreg(HW_REG_IB_STS2, 6, 4)
	s_mul_i32 s7, ttmp9, s3
	v_mov_b32_e32 v5, 0
	s_add_co_i32 s5, s5, s7
	s_wait_kmcnt 0x0
	s_ashr_i32 s3, s2, 31
	s_and_b32 s4, s4, 0xffff
	s_cmp_eq_u32 s6, 0
	s_cselect_b32 s5, ttmp9, s5
	s_delay_alu instid0(SALU_CYCLE_1) | instskip(NEXT) | instid1(VALU_DEP_1)
	v_mad_u32 v4, s5, s4, v0
	v_cmp_gt_i64_e32 vcc_lo, s[2:3], v[4:5]
	s_and_saveexec_b32 s2, vcc_lo
	s_cbranch_execz .LBB4_17
; %bb.1:
	s_load_b64 s[2:3], s[0:1], 0x8
	v_mov_b64_e32 v[6:7], 0
	s_mov_b32 s7, exec_lo
	s_wait_kmcnt 0x0
	v_lshl_add_u64 v[0:1], v[4:5], 3, s[2:3]
	global_load_b128 v[0:3], v[0:1], off
	s_wait_loadcnt 0x0
	v_cmpx_lt_i64_e64 v[0:1], v[2:3]
	s_cbranch_execz .LBB4_16
; %bb.2:
	s_clause 0x1
	s_load_b96 s[4:6], s[0:1], 0x18
	s_load_b64 s[8:9], s[0:1], 0x10
	v_lshlrev_b64_e32 v[6:7], 2, v[0:1]
	s_mov_b32 s3, 0
	s_wait_kmcnt 0x0
	s_bitcmp1_b32 s5, 0
	s_cselect_b32 s2, -1, 0
	s_delay_alu instid0(SALU_CYCLE_1)
	s_xor_b32 s5, s2, -1
	s_cmp_lg_u32 s6, 1
	s_mov_b32 s2, s4
	s_cselect_b32 s6, -1, 0
	s_lshl_b64 s[10:11], s[2:3], 2
	v_sub_nc_u64_e64 v[2:3], v[2:3], s[2:3]
	v_sub_nc_u64_e64 v[6:7], v[6:7], s[10:11]
	;; [unrolled: 1-line block ×3, first 2 shown]
	s_mov_b32 s2, 0
	s_delay_alu instid0(VALU_DEP_2)
	v_add_nc_u64_e32 v[8:9], s[8:9], v[6:7]
	v_mov_b64_e32 v[6:7], 0
	s_branch .LBB4_4
.LBB4_3:                                ;   in Loop: Header=BB4_4 Depth=1
	v_add_nc_u64_e32 v[0:1], 1, v[0:1]
	v_cndmask_b32_e64 v10, 0, 1, s8
	v_mov_b32_e32 v11, s3
	v_add_nc_u64_e32 v[8:9], 4, v[8:9]
	s_delay_alu instid0(VALU_DEP_2) | instskip(SKIP_2) | instid1(SALU_CYCLE_1)
	v_add_nc_u64_e32 v[6:7], v[6:7], v[10:11]
	v_cmp_ge_i64_e32 vcc_lo, v[0:1], v[2:3]
	s_or_b32 s2, vcc_lo, s2
	s_and_not1_b32 exec_lo, exec_lo, s2
	s_cbranch_execz .LBB4_15
.LBB4_4:                                ; =>This Inner Loop Header: Depth=1
	global_load_b32 v10, v[8:9], off
	s_and_b32 vcc_lo, exec_lo, s5
	s_mov_b32 s9, -1
                                        ; implicit-def: $sgpr8
	s_wait_loadcnt 0x0
	v_subrev_nc_u32_e32 v10, s4, v10
	s_cbranch_vccz .LBB4_10
; %bb.5:                                ;   in Loop: Header=BB4_4 Depth=1
	s_and_b32 vcc_lo, exec_lo, s6
                                        ; implicit-def: $sgpr8
	s_cbranch_vccz .LBB4_7
; %bb.6:                                ;   in Loop: Header=BB4_4 Depth=1
	s_delay_alu instid0(VALU_DEP_1)
	v_cmp_le_i32_e64 s8, v4, v10
	s_mov_b32 s9, 0
.LBB4_7:                                ;   in Loop: Header=BB4_4 Depth=1
	s_delay_alu instid0(SALU_CYCLE_1)
	s_and_not1_b32 vcc_lo, exec_lo, s9
	s_cbranch_vccnz .LBB4_9
; %bb.8:                                ;   in Loop: Header=BB4_4 Depth=1
	v_cmp_lt_i32_e32 vcc_lo, v4, v10
	s_and_not1_b32 s8, s8, exec_lo
	s_and_b32 s9, vcc_lo, exec_lo
	s_delay_alu instid0(SALU_CYCLE_1)
	s_or_b32 s8, s8, s9
.LBB4_9:                                ;   in Loop: Header=BB4_4 Depth=1
	s_mov_b32 s9, 0
.LBB4_10:                               ;   in Loop: Header=BB4_4 Depth=1
	s_delay_alu instid0(SALU_CYCLE_1)
	s_and_not1_b32 vcc_lo, exec_lo, s9
	s_cbranch_vccnz .LBB4_3
; %bb.11:                               ;   in Loop: Header=BB4_4 Depth=1
	s_and_b32 vcc_lo, exec_lo, s6
	s_mov_b32 s9, -1
                                        ; implicit-def: $sgpr8
	s_cbranch_vccz .LBB4_13
; %bb.12:                               ;   in Loop: Header=BB4_4 Depth=1
	v_cmp_ge_i32_e64 s8, v4, v10
	s_mov_b32 s9, 0
.LBB4_13:                               ;   in Loop: Header=BB4_4 Depth=1
	s_delay_alu instid0(SALU_CYCLE_1)
	s_and_not1_b32 vcc_lo, exec_lo, s9
	s_cbranch_vccnz .LBB4_3
; %bb.14:                               ;   in Loop: Header=BB4_4 Depth=1
	v_cmp_gt_i32_e32 vcc_lo, v4, v10
	s_and_not1_b32 s8, s8, exec_lo
	s_and_b32 s9, vcc_lo, exec_lo
	s_delay_alu instid0(SALU_CYCLE_1)
	s_or_b32 s8, s8, s9
	s_branch .LBB4_3
.LBB4_15:
	s_or_b32 exec_lo, exec_lo, s2
.LBB4_16:
	s_delay_alu instid0(SALU_CYCLE_1)
	s_or_b32 exec_lo, exec_lo, s7
	s_load_b64 s[0:1], s[0:1], 0x28
	s_wait_kmcnt 0x0
	v_lshl_add_u64 v[0:1], v[4:5], 3, s[0:1]
	global_store_b64 v[0:1], v[6:7], off offset:8
.LBB4_17:
	s_endpgm
	.section	.rodata,"a",@progbits
	.p2align	6, 0x0
	.amdhsa_kernel _ZN9rocsparseL20extract_count_kernelILj1024EliEEvT1_PKT0_PKS1_21rocsparse_index_base_b20rocsparse_diag_type_PS2_
		.amdhsa_group_segment_fixed_size 0
		.amdhsa_private_segment_fixed_size 0
		.amdhsa_kernarg_size 304
		.amdhsa_user_sgpr_count 2
		.amdhsa_user_sgpr_dispatch_ptr 0
		.amdhsa_user_sgpr_queue_ptr 0
		.amdhsa_user_sgpr_kernarg_segment_ptr 1
		.amdhsa_user_sgpr_dispatch_id 0
		.amdhsa_user_sgpr_kernarg_preload_length 0
		.amdhsa_user_sgpr_kernarg_preload_offset 0
		.amdhsa_user_sgpr_private_segment_size 0
		.amdhsa_wavefront_size32 1
		.amdhsa_uses_dynamic_stack 0
		.amdhsa_enable_private_segment 0
		.amdhsa_system_sgpr_workgroup_id_x 1
		.amdhsa_system_sgpr_workgroup_id_y 0
		.amdhsa_system_sgpr_workgroup_id_z 0
		.amdhsa_system_sgpr_workgroup_info 0
		.amdhsa_system_vgpr_workitem_id 0
		.amdhsa_next_free_vgpr 12
		.amdhsa_next_free_sgpr 12
		.amdhsa_named_barrier_count 0
		.amdhsa_reserve_vcc 1
		.amdhsa_float_round_mode_32 0
		.amdhsa_float_round_mode_16_64 0
		.amdhsa_float_denorm_mode_32 3
		.amdhsa_float_denorm_mode_16_64 3
		.amdhsa_fp16_overflow 0
		.amdhsa_memory_ordered 1
		.amdhsa_forward_progress 1
		.amdhsa_inst_pref_size 5
		.amdhsa_round_robin_scheduling 0
		.amdhsa_exception_fp_ieee_invalid_op 0
		.amdhsa_exception_fp_denorm_src 0
		.amdhsa_exception_fp_ieee_div_zero 0
		.amdhsa_exception_fp_ieee_overflow 0
		.amdhsa_exception_fp_ieee_underflow 0
		.amdhsa_exception_fp_ieee_inexact 0
		.amdhsa_exception_int_div_zero 0
	.end_amdhsa_kernel
	.section	.text._ZN9rocsparseL20extract_count_kernelILj1024EliEEvT1_PKT0_PKS1_21rocsparse_index_base_b20rocsparse_diag_type_PS2_,"axG",@progbits,_ZN9rocsparseL20extract_count_kernelILj1024EliEEvT1_PKT0_PKS1_21rocsparse_index_base_b20rocsparse_diag_type_PS2_,comdat
.Lfunc_end4:
	.size	_ZN9rocsparseL20extract_count_kernelILj1024EliEEvT1_PKT0_PKS1_21rocsparse_index_base_b20rocsparse_diag_type_PS2_, .Lfunc_end4-_ZN9rocsparseL20extract_count_kernelILj1024EliEEvT1_PKT0_PKS1_21rocsparse_index_base_b20rocsparse_diag_type_PS2_
                                        ; -- End function
	.set _ZN9rocsparseL20extract_count_kernelILj1024EliEEvT1_PKT0_PKS1_21rocsparse_index_base_b20rocsparse_diag_type_PS2_.num_vgpr, 12
	.set _ZN9rocsparseL20extract_count_kernelILj1024EliEEvT1_PKT0_PKS1_21rocsparse_index_base_b20rocsparse_diag_type_PS2_.num_agpr, 0
	.set _ZN9rocsparseL20extract_count_kernelILj1024EliEEvT1_PKT0_PKS1_21rocsparse_index_base_b20rocsparse_diag_type_PS2_.numbered_sgpr, 12
	.set _ZN9rocsparseL20extract_count_kernelILj1024EliEEvT1_PKT0_PKS1_21rocsparse_index_base_b20rocsparse_diag_type_PS2_.num_named_barrier, 0
	.set _ZN9rocsparseL20extract_count_kernelILj1024EliEEvT1_PKT0_PKS1_21rocsparse_index_base_b20rocsparse_diag_type_PS2_.private_seg_size, 0
	.set _ZN9rocsparseL20extract_count_kernelILj1024EliEEvT1_PKT0_PKS1_21rocsparse_index_base_b20rocsparse_diag_type_PS2_.uses_vcc, 1
	.set _ZN9rocsparseL20extract_count_kernelILj1024EliEEvT1_PKT0_PKS1_21rocsparse_index_base_b20rocsparse_diag_type_PS2_.uses_flat_scratch, 0
	.set _ZN9rocsparseL20extract_count_kernelILj1024EliEEvT1_PKT0_PKS1_21rocsparse_index_base_b20rocsparse_diag_type_PS2_.has_dyn_sized_stack, 0
	.set _ZN9rocsparseL20extract_count_kernelILj1024EliEEvT1_PKT0_PKS1_21rocsparse_index_base_b20rocsparse_diag_type_PS2_.has_recursion, 0
	.set _ZN9rocsparseL20extract_count_kernelILj1024EliEEvT1_PKT0_PKS1_21rocsparse_index_base_b20rocsparse_diag_type_PS2_.has_indirect_call, 0
	.section	.AMDGPU.csdata,"",@progbits
; Kernel info:
; codeLenInByte = 520
; TotalNumSgprs: 14
; NumVgprs: 12
; ScratchSize: 0
; MemoryBound: 0
; FloatMode: 240
; IeeeMode: 1
; LDSByteSize: 0 bytes/workgroup (compile time only)
; SGPRBlocks: 0
; VGPRBlocks: 0
; NumSGPRsForWavesPerEU: 14
; NumVGPRsForWavesPerEU: 12
; NamedBarCnt: 0
; Occupancy: 16
; WaveLimiterHint : 0
; COMPUTE_PGM_RSRC2:SCRATCH_EN: 0
; COMPUTE_PGM_RSRC2:USER_SGPR: 2
; COMPUTE_PGM_RSRC2:TRAP_HANDLER: 0
; COMPUTE_PGM_RSRC2:TGID_X_EN: 1
; COMPUTE_PGM_RSRC2:TGID_Y_EN: 0
; COMPUTE_PGM_RSRC2:TGID_Z_EN: 0
; COMPUTE_PGM_RSRC2:TIDIG_COMP_CNT: 0
	.section	.text._ZN9rocsparseL23extract_grab_nnz_kernelIliEEvT0_PKT_21rocsparse_index_base_Pl,"axG",@progbits,_ZN9rocsparseL23extract_grab_nnz_kernelIliEEvT0_PKT_21rocsparse_index_base_Pl,comdat
	.globl	_ZN9rocsparseL23extract_grab_nnz_kernelIliEEvT0_PKT_21rocsparse_index_base_Pl ; -- Begin function _ZN9rocsparseL23extract_grab_nnz_kernelIliEEvT0_PKT_21rocsparse_index_base_Pl
	.p2align	8
	.type	_ZN9rocsparseL23extract_grab_nnz_kernelIliEEvT0_PKT_21rocsparse_index_base_Pl,@function
_ZN9rocsparseL23extract_grab_nnz_kernelIliEEvT0_PKT_21rocsparse_index_base_Pl: ; @_ZN9rocsparseL23extract_grab_nnz_kernelIliEEvT0_PKT_21rocsparse_index_base_Pl
; %bb.0:
	s_clause 0x2
	s_load_b32 s2, s[0:1], 0x0
	s_load_b96 s[4:6], s[0:1], 0x8
	s_load_b64 s[8:9], s[0:1], 0x18
	v_mov_b32_e32 v2, 0
	s_wait_kmcnt 0x0
	s_ashr_i32 s3, s2, 31
	s_delay_alu instid0(SALU_CYCLE_1)
	s_lshl_b64 s[0:1], s[2:3], 3
	s_mov_b32 s3, 0
	s_add_nc_u64 s[0:1], s[4:5], s[0:1]
	s_mov_b32 s2, s6
	s_load_b64 s[0:1], s[0:1], 0x0
	s_wait_kmcnt 0x0
	s_sub_nc_u64 s[0:1], s[0:1], s[2:3]
	s_delay_alu instid0(SALU_CYCLE_1)
	v_mov_b64_e32 v[0:1], s[0:1]
	global_store_b64 v2, v[0:1], s[8:9]
	s_endpgm
	.section	.rodata,"a",@progbits
	.p2align	6, 0x0
	.amdhsa_kernel _ZN9rocsparseL23extract_grab_nnz_kernelIliEEvT0_PKT_21rocsparse_index_base_Pl
		.amdhsa_group_segment_fixed_size 0
		.amdhsa_private_segment_fixed_size 0
		.amdhsa_kernarg_size 32
		.amdhsa_user_sgpr_count 2
		.amdhsa_user_sgpr_dispatch_ptr 0
		.amdhsa_user_sgpr_queue_ptr 0
		.amdhsa_user_sgpr_kernarg_segment_ptr 1
		.amdhsa_user_sgpr_dispatch_id 0
		.amdhsa_user_sgpr_kernarg_preload_length 0
		.amdhsa_user_sgpr_kernarg_preload_offset 0
		.amdhsa_user_sgpr_private_segment_size 0
		.amdhsa_wavefront_size32 1
		.amdhsa_uses_dynamic_stack 0
		.amdhsa_enable_private_segment 0
		.amdhsa_system_sgpr_workgroup_id_x 1
		.amdhsa_system_sgpr_workgroup_id_y 0
		.amdhsa_system_sgpr_workgroup_id_z 0
		.amdhsa_system_sgpr_workgroup_info 0
		.amdhsa_system_vgpr_workitem_id 0
		.amdhsa_next_free_vgpr 3
		.amdhsa_next_free_sgpr 10
		.amdhsa_named_barrier_count 0
		.amdhsa_reserve_vcc 0
		.amdhsa_float_round_mode_32 0
		.amdhsa_float_round_mode_16_64 0
		.amdhsa_float_denorm_mode_32 3
		.amdhsa_float_denorm_mode_16_64 3
		.amdhsa_fp16_overflow 0
		.amdhsa_memory_ordered 1
		.amdhsa_forward_progress 1
		.amdhsa_inst_pref_size 1
		.amdhsa_round_robin_scheduling 0
		.amdhsa_exception_fp_ieee_invalid_op 0
		.amdhsa_exception_fp_denorm_src 0
		.amdhsa_exception_fp_ieee_div_zero 0
		.amdhsa_exception_fp_ieee_overflow 0
		.amdhsa_exception_fp_ieee_underflow 0
		.amdhsa_exception_fp_ieee_inexact 0
		.amdhsa_exception_int_div_zero 0
	.end_amdhsa_kernel
	.section	.text._ZN9rocsparseL23extract_grab_nnz_kernelIliEEvT0_PKT_21rocsparse_index_base_Pl,"axG",@progbits,_ZN9rocsparseL23extract_grab_nnz_kernelIliEEvT0_PKT_21rocsparse_index_base_Pl,comdat
.Lfunc_end5:
	.size	_ZN9rocsparseL23extract_grab_nnz_kernelIliEEvT0_PKT_21rocsparse_index_base_Pl, .Lfunc_end5-_ZN9rocsparseL23extract_grab_nnz_kernelIliEEvT0_PKT_21rocsparse_index_base_Pl
                                        ; -- End function
	.set _ZN9rocsparseL23extract_grab_nnz_kernelIliEEvT0_PKT_21rocsparse_index_base_Pl.num_vgpr, 3
	.set _ZN9rocsparseL23extract_grab_nnz_kernelIliEEvT0_PKT_21rocsparse_index_base_Pl.num_agpr, 0
	.set _ZN9rocsparseL23extract_grab_nnz_kernelIliEEvT0_PKT_21rocsparse_index_base_Pl.numbered_sgpr, 10
	.set _ZN9rocsparseL23extract_grab_nnz_kernelIliEEvT0_PKT_21rocsparse_index_base_Pl.num_named_barrier, 0
	.set _ZN9rocsparseL23extract_grab_nnz_kernelIliEEvT0_PKT_21rocsparse_index_base_Pl.private_seg_size, 0
	.set _ZN9rocsparseL23extract_grab_nnz_kernelIliEEvT0_PKT_21rocsparse_index_base_Pl.uses_vcc, 0
	.set _ZN9rocsparseL23extract_grab_nnz_kernelIliEEvT0_PKT_21rocsparse_index_base_Pl.uses_flat_scratch, 0
	.set _ZN9rocsparseL23extract_grab_nnz_kernelIliEEvT0_PKT_21rocsparse_index_base_Pl.has_dyn_sized_stack, 0
	.set _ZN9rocsparseL23extract_grab_nnz_kernelIliEEvT0_PKT_21rocsparse_index_base_Pl.has_recursion, 0
	.set _ZN9rocsparseL23extract_grab_nnz_kernelIliEEvT0_PKT_21rocsparse_index_base_Pl.has_indirect_call, 0
	.section	.AMDGPU.csdata,"",@progbits
; Kernel info:
; codeLenInByte = 100
; TotalNumSgprs: 10
; NumVgprs: 3
; ScratchSize: 0
; MemoryBound: 0
; FloatMode: 240
; IeeeMode: 1
; LDSByteSize: 0 bytes/workgroup (compile time only)
; SGPRBlocks: 0
; VGPRBlocks: 0
; NumSGPRsForWavesPerEU: 10
; NumVGPRsForWavesPerEU: 3
; NamedBarCnt: 0
; Occupancy: 16
; WaveLimiterHint : 0
; COMPUTE_PGM_RSRC2:SCRATCH_EN: 0
; COMPUTE_PGM_RSRC2:USER_SGPR: 2
; COMPUTE_PGM_RSRC2:TRAP_HANDLER: 0
; COMPUTE_PGM_RSRC2:TGID_X_EN: 1
; COMPUTE_PGM_RSRC2:TGID_Y_EN: 0
; COMPUTE_PGM_RSRC2:TGID_Z_EN: 0
; COMPUTE_PGM_RSRC2:TIDIG_COMP_CNT: 0
	.section	.text._ZN9rocsparseL20extract_count_kernelILj1024EllEEvT1_PKT0_PKS1_21rocsparse_index_base_b20rocsparse_diag_type_PS2_,"axG",@progbits,_ZN9rocsparseL20extract_count_kernelILj1024EllEEvT1_PKT0_PKS1_21rocsparse_index_base_b20rocsparse_diag_type_PS2_,comdat
	.globl	_ZN9rocsparseL20extract_count_kernelILj1024EllEEvT1_PKT0_PKS1_21rocsparse_index_base_b20rocsparse_diag_type_PS2_ ; -- Begin function _ZN9rocsparseL20extract_count_kernelILj1024EllEEvT1_PKT0_PKS1_21rocsparse_index_base_b20rocsparse_diag_type_PS2_
	.p2align	8
	.type	_ZN9rocsparseL20extract_count_kernelILj1024EllEEvT1_PKT0_PKS1_21rocsparse_index_base_b20rocsparse_diag_type_PS2_,@function
_ZN9rocsparseL20extract_count_kernelILj1024EllEEvT1_PKT0_PKS1_21rocsparse_index_base_b20rocsparse_diag_type_PS2_: ; @_ZN9rocsparseL20extract_count_kernelILj1024EllEEvT1_PKT0_PKS1_21rocsparse_index_base_b20rocsparse_diag_type_PS2_
; %bb.0:
	s_clause 0x1
	s_load_b32 s4, s[0:1], 0x3c
	s_load_b64 s[2:3], s[0:1], 0x0
	s_bfe_u32 s5, ttmp6, 0x4000c
	s_and_b32 s6, ttmp6, 15
	s_add_co_i32 s5, s5, 1
	s_getreg_b32 s7, hwreg(HW_REG_IB_STS2, 6, 4)
	s_mul_i32 s5, ttmp9, s5
	v_mov_b32_e32 v5, 0
	s_add_co_i32 s6, s6, s5
	s_wait_kmcnt 0x0
	s_and_b32 s4, s4, 0xffff
	s_cmp_eq_u32 s7, 0
	s_cselect_b32 s5, ttmp9, s6
	s_delay_alu instid0(SALU_CYCLE_1) | instskip(NEXT) | instid1(VALU_DEP_1)
	v_mad_u32 v4, s5, s4, v0
	v_cmp_gt_i64_e32 vcc_lo, s[2:3], v[4:5]
	s_and_saveexec_b32 s2, vcc_lo
	s_cbranch_execz .LBB6_17
; %bb.1:
	s_load_b64 s[2:3], s[0:1], 0x8
	v_mov_b64_e32 v[6:7], 0
	s_mov_b32 s4, exec_lo
	s_wait_kmcnt 0x0
	v_lshl_add_u64 v[0:1], v[4:5], 3, s[2:3]
	global_load_b128 v[0:3], v[0:1], off
	s_wait_loadcnt 0x0
	v_cmpx_lt_i64_e64 v[0:1], v[2:3]
	s_cbranch_execz .LBB6_16
; %bb.2:
	s_clause 0x1
	s_load_b96 s[8:10], s[0:1], 0x18
	s_load_b64 s[12:13], s[0:1], 0x10
	v_lshlrev_b64_e32 v[6:7], 3, v[0:1]
	s_mov_b32 s3, 0
	s_delay_alu instid0(SALU_CYCLE_1) | instskip(SKIP_3) | instid1(SALU_CYCLE_1)
	s_mov_b32 s7, s3
	s_wait_kmcnt 0x0
	s_bitcmp1_b32 s9, 0
	s_cselect_b32 s2, -1, 0
	s_xor_b32 s5, s2, -1
	s_cmp_lg_u32 s10, 1
	s_mov_b32 s2, s8
	s_cselect_b32 s6, -1, 0
	s_lshl_b64 s[8:9], s[2:3], 3
	v_sub_nc_u64_e64 v[2:3], v[2:3], s[2:3]
	v_sub_nc_u64_e64 v[6:7], v[6:7], s[8:9]
	;; [unrolled: 1-line block ×3, first 2 shown]
	s_delay_alu instid0(VALU_DEP_2)
	v_add_nc_u64_e32 v[8:9], s[12:13], v[6:7]
	v_mov_b64_e32 v[6:7], 0
	s_branch .LBB6_4
.LBB6_3:                                ;   in Loop: Header=BB6_4 Depth=1
	v_add_nc_u64_e32 v[0:1], 1, v[0:1]
	v_cndmask_b32_e64 v10, 0, 1, s8
	v_mov_b32_e32 v11, s3
	v_add_nc_u64_e32 v[8:9], 8, v[8:9]
	s_delay_alu instid0(VALU_DEP_2) | instskip(SKIP_2) | instid1(SALU_CYCLE_1)
	v_add_nc_u64_e32 v[6:7], v[6:7], v[10:11]
	v_cmp_ge_i64_e32 vcc_lo, v[0:1], v[2:3]
	s_or_b32 s7, vcc_lo, s7
	s_and_not1_b32 exec_lo, exec_lo, s7
	s_cbranch_execz .LBB6_15
.LBB6_4:                                ; =>This Inner Loop Header: Depth=1
	global_load_b64 v[10:11], v[8:9], off
	s_and_b32 vcc_lo, exec_lo, s5
	s_mov_b32 s9, -1
                                        ; implicit-def: $sgpr8
	s_wait_loadcnt 0x0
	v_sub_nc_u64_e64 v[10:11], v[10:11], s[2:3]
	s_cbranch_vccz .LBB6_10
; %bb.5:                                ;   in Loop: Header=BB6_4 Depth=1
	s_and_b32 vcc_lo, exec_lo, s6
                                        ; implicit-def: $sgpr8
	s_cbranch_vccz .LBB6_7
; %bb.6:                                ;   in Loop: Header=BB6_4 Depth=1
	s_delay_alu instid0(VALU_DEP_1)
	v_cmp_ge_i64_e64 s8, v[10:11], v[4:5]
	s_mov_b32 s9, 0
.LBB6_7:                                ;   in Loop: Header=BB6_4 Depth=1
	s_delay_alu instid0(SALU_CYCLE_1)
	s_and_not1_b32 vcc_lo, exec_lo, s9
	s_cbranch_vccnz .LBB6_9
; %bb.8:                                ;   in Loop: Header=BB6_4 Depth=1
	s_delay_alu instid0(VALU_DEP_1) | instskip(SKIP_2) | instid1(SALU_CYCLE_1)
	v_cmp_gt_i64_e32 vcc_lo, v[10:11], v[4:5]
	s_and_not1_b32 s8, s8, exec_lo
	s_and_b32 s9, vcc_lo, exec_lo
	s_or_b32 s8, s8, s9
.LBB6_9:                                ;   in Loop: Header=BB6_4 Depth=1
	s_mov_b32 s9, 0
.LBB6_10:                               ;   in Loop: Header=BB6_4 Depth=1
	s_delay_alu instid0(SALU_CYCLE_1)
	s_and_not1_b32 vcc_lo, exec_lo, s9
	s_cbranch_vccnz .LBB6_3
; %bb.11:                               ;   in Loop: Header=BB6_4 Depth=1
	s_and_b32 vcc_lo, exec_lo, s6
	s_mov_b32 s9, -1
                                        ; implicit-def: $sgpr8
	s_cbranch_vccz .LBB6_13
; %bb.12:                               ;   in Loop: Header=BB6_4 Depth=1
	v_cmp_le_i64_e64 s8, v[10:11], v[4:5]
	s_mov_b32 s9, 0
.LBB6_13:                               ;   in Loop: Header=BB6_4 Depth=1
	s_delay_alu instid0(SALU_CYCLE_1)
	s_and_not1_b32 vcc_lo, exec_lo, s9
	s_cbranch_vccnz .LBB6_3
; %bb.14:                               ;   in Loop: Header=BB6_4 Depth=1
	v_cmp_lt_i64_e32 vcc_lo, v[10:11], v[4:5]
	s_and_not1_b32 s8, s8, exec_lo
	s_and_b32 s9, vcc_lo, exec_lo
	s_delay_alu instid0(SALU_CYCLE_1)
	s_or_b32 s8, s8, s9
	s_branch .LBB6_3
.LBB6_15:
	s_or_b32 exec_lo, exec_lo, s7
.LBB6_16:
	s_delay_alu instid0(SALU_CYCLE_1)
	s_or_b32 exec_lo, exec_lo, s4
	s_load_b64 s[0:1], s[0:1], 0x28
	s_wait_kmcnt 0x0
	v_lshl_add_u64 v[0:1], v[4:5], 3, s[0:1]
	global_store_b64 v[0:1], v[6:7], off offset:8
.LBB6_17:
	s_endpgm
	.section	.rodata,"a",@progbits
	.p2align	6, 0x0
	.amdhsa_kernel _ZN9rocsparseL20extract_count_kernelILj1024EllEEvT1_PKT0_PKS1_21rocsparse_index_base_b20rocsparse_diag_type_PS2_
		.amdhsa_group_segment_fixed_size 0
		.amdhsa_private_segment_fixed_size 0
		.amdhsa_kernarg_size 304
		.amdhsa_user_sgpr_count 2
		.amdhsa_user_sgpr_dispatch_ptr 0
		.amdhsa_user_sgpr_queue_ptr 0
		.amdhsa_user_sgpr_kernarg_segment_ptr 1
		.amdhsa_user_sgpr_dispatch_id 0
		.amdhsa_user_sgpr_kernarg_preload_length 0
		.amdhsa_user_sgpr_kernarg_preload_offset 0
		.amdhsa_user_sgpr_private_segment_size 0
		.amdhsa_wavefront_size32 1
		.amdhsa_uses_dynamic_stack 0
		.amdhsa_enable_private_segment 0
		.amdhsa_system_sgpr_workgroup_id_x 1
		.amdhsa_system_sgpr_workgroup_id_y 0
		.amdhsa_system_sgpr_workgroup_id_z 0
		.amdhsa_system_sgpr_workgroup_info 0
		.amdhsa_system_vgpr_workitem_id 0
		.amdhsa_next_free_vgpr 12
		.amdhsa_next_free_sgpr 14
		.amdhsa_named_barrier_count 0
		.amdhsa_reserve_vcc 1
		.amdhsa_float_round_mode_32 0
		.amdhsa_float_round_mode_16_64 0
		.amdhsa_float_denorm_mode_32 3
		.amdhsa_float_denorm_mode_16_64 3
		.amdhsa_fp16_overflow 0
		.amdhsa_memory_ordered 1
		.amdhsa_forward_progress 1
		.amdhsa_inst_pref_size 5
		.amdhsa_round_robin_scheduling 0
		.amdhsa_exception_fp_ieee_invalid_op 0
		.amdhsa_exception_fp_denorm_src 0
		.amdhsa_exception_fp_ieee_div_zero 0
		.amdhsa_exception_fp_ieee_overflow 0
		.amdhsa_exception_fp_ieee_underflow 0
		.amdhsa_exception_fp_ieee_inexact 0
		.amdhsa_exception_int_div_zero 0
	.end_amdhsa_kernel
	.section	.text._ZN9rocsparseL20extract_count_kernelILj1024EllEEvT1_PKT0_PKS1_21rocsparse_index_base_b20rocsparse_diag_type_PS2_,"axG",@progbits,_ZN9rocsparseL20extract_count_kernelILj1024EllEEvT1_PKT0_PKS1_21rocsparse_index_base_b20rocsparse_diag_type_PS2_,comdat
.Lfunc_end6:
	.size	_ZN9rocsparseL20extract_count_kernelILj1024EllEEvT1_PKT0_PKS1_21rocsparse_index_base_b20rocsparse_diag_type_PS2_, .Lfunc_end6-_ZN9rocsparseL20extract_count_kernelILj1024EllEEvT1_PKT0_PKS1_21rocsparse_index_base_b20rocsparse_diag_type_PS2_
                                        ; -- End function
	.set _ZN9rocsparseL20extract_count_kernelILj1024EllEEvT1_PKT0_PKS1_21rocsparse_index_base_b20rocsparse_diag_type_PS2_.num_vgpr, 12
	.set _ZN9rocsparseL20extract_count_kernelILj1024EllEEvT1_PKT0_PKS1_21rocsparse_index_base_b20rocsparse_diag_type_PS2_.num_agpr, 0
	.set _ZN9rocsparseL20extract_count_kernelILj1024EllEEvT1_PKT0_PKS1_21rocsparse_index_base_b20rocsparse_diag_type_PS2_.numbered_sgpr, 14
	.set _ZN9rocsparseL20extract_count_kernelILj1024EllEEvT1_PKT0_PKS1_21rocsparse_index_base_b20rocsparse_diag_type_PS2_.num_named_barrier, 0
	.set _ZN9rocsparseL20extract_count_kernelILj1024EllEEvT1_PKT0_PKS1_21rocsparse_index_base_b20rocsparse_diag_type_PS2_.private_seg_size, 0
	.set _ZN9rocsparseL20extract_count_kernelILj1024EllEEvT1_PKT0_PKS1_21rocsparse_index_base_b20rocsparse_diag_type_PS2_.uses_vcc, 1
	.set _ZN9rocsparseL20extract_count_kernelILj1024EllEEvT1_PKT0_PKS1_21rocsparse_index_base_b20rocsparse_diag_type_PS2_.uses_flat_scratch, 0
	.set _ZN9rocsparseL20extract_count_kernelILj1024EllEEvT1_PKT0_PKS1_21rocsparse_index_base_b20rocsparse_diag_type_PS2_.has_dyn_sized_stack, 0
	.set _ZN9rocsparseL20extract_count_kernelILj1024EllEEvT1_PKT0_PKS1_21rocsparse_index_base_b20rocsparse_diag_type_PS2_.has_recursion, 0
	.set _ZN9rocsparseL20extract_count_kernelILj1024EllEEvT1_PKT0_PKS1_21rocsparse_index_base_b20rocsparse_diag_type_PS2_.has_indirect_call, 0
	.section	.AMDGPU.csdata,"",@progbits
; Kernel info:
; codeLenInByte = 520
; TotalNumSgprs: 16
; NumVgprs: 12
; ScratchSize: 0
; MemoryBound: 0
; FloatMode: 240
; IeeeMode: 1
; LDSByteSize: 0 bytes/workgroup (compile time only)
; SGPRBlocks: 0
; VGPRBlocks: 0
; NumSGPRsForWavesPerEU: 16
; NumVGPRsForWavesPerEU: 12
; NamedBarCnt: 0
; Occupancy: 16
; WaveLimiterHint : 0
; COMPUTE_PGM_RSRC2:SCRATCH_EN: 0
; COMPUTE_PGM_RSRC2:USER_SGPR: 2
; COMPUTE_PGM_RSRC2:TRAP_HANDLER: 0
; COMPUTE_PGM_RSRC2:TGID_X_EN: 1
; COMPUTE_PGM_RSRC2:TGID_Y_EN: 0
; COMPUTE_PGM_RSRC2:TGID_Z_EN: 0
; COMPUTE_PGM_RSRC2:TIDIG_COMP_CNT: 0
	.section	.text._ZN9rocsparseL23extract_grab_nnz_kernelIllEEvT0_PKT_21rocsparse_index_base_Pl,"axG",@progbits,_ZN9rocsparseL23extract_grab_nnz_kernelIllEEvT0_PKT_21rocsparse_index_base_Pl,comdat
	.globl	_ZN9rocsparseL23extract_grab_nnz_kernelIllEEvT0_PKT_21rocsparse_index_base_Pl ; -- Begin function _ZN9rocsparseL23extract_grab_nnz_kernelIllEEvT0_PKT_21rocsparse_index_base_Pl
	.p2align	8
	.type	_ZN9rocsparseL23extract_grab_nnz_kernelIllEEvT0_PKT_21rocsparse_index_base_Pl,@function
_ZN9rocsparseL23extract_grab_nnz_kernelIllEEvT0_PKT_21rocsparse_index_base_Pl: ; @_ZN9rocsparseL23extract_grab_nnz_kernelIllEEvT0_PKT_21rocsparse_index_base_Pl
; %bb.0:
	s_clause 0x1
	s_load_b128 s[4:7], s[0:1], 0x0
	s_load_b32 s2, s[0:1], 0x10
	s_mov_b32 s3, 0
	v_mov_b32_e32 v2, 0
	s_wait_kmcnt 0x0
	s_lshl_b64 s[4:5], s[4:5], 3
	s_delay_alu instid0(SALU_CYCLE_1) | instskip(SKIP_4) | instid1(SALU_CYCLE_1)
	s_add_nc_u64 s[4:5], s[6:7], s[4:5]
	s_load_b64 s[6:7], s[4:5], 0x0
	s_load_b64 s[8:9], s[0:1], 0x18
	s_wait_kmcnt 0x0
	s_sub_nc_u64 s[0:1], s[6:7], s[2:3]
	v_mov_b64_e32 v[0:1], s[0:1]
	global_store_b64 v2, v[0:1], s[8:9]
	s_endpgm
	.section	.rodata,"a",@progbits
	.p2align	6, 0x0
	.amdhsa_kernel _ZN9rocsparseL23extract_grab_nnz_kernelIllEEvT0_PKT_21rocsparse_index_base_Pl
		.amdhsa_group_segment_fixed_size 0
		.amdhsa_private_segment_fixed_size 0
		.amdhsa_kernarg_size 32
		.amdhsa_user_sgpr_count 2
		.amdhsa_user_sgpr_dispatch_ptr 0
		.amdhsa_user_sgpr_queue_ptr 0
		.amdhsa_user_sgpr_kernarg_segment_ptr 1
		.amdhsa_user_sgpr_dispatch_id 0
		.amdhsa_user_sgpr_kernarg_preload_length 0
		.amdhsa_user_sgpr_kernarg_preload_offset 0
		.amdhsa_user_sgpr_private_segment_size 0
		.amdhsa_wavefront_size32 1
		.amdhsa_uses_dynamic_stack 0
		.amdhsa_enable_private_segment 0
		.amdhsa_system_sgpr_workgroup_id_x 1
		.amdhsa_system_sgpr_workgroup_id_y 0
		.amdhsa_system_sgpr_workgroup_id_z 0
		.amdhsa_system_sgpr_workgroup_info 0
		.amdhsa_system_vgpr_workitem_id 0
		.amdhsa_next_free_vgpr 3
		.amdhsa_next_free_sgpr 10
		.amdhsa_named_barrier_count 0
		.amdhsa_reserve_vcc 0
		.amdhsa_float_round_mode_32 0
		.amdhsa_float_round_mode_16_64 0
		.amdhsa_float_denorm_mode_32 3
		.amdhsa_float_denorm_mode_16_64 3
		.amdhsa_fp16_overflow 0
		.amdhsa_memory_ordered 1
		.amdhsa_forward_progress 1
		.amdhsa_inst_pref_size 1
		.amdhsa_round_robin_scheduling 0
		.amdhsa_exception_fp_ieee_invalid_op 0
		.amdhsa_exception_fp_denorm_src 0
		.amdhsa_exception_fp_ieee_div_zero 0
		.amdhsa_exception_fp_ieee_overflow 0
		.amdhsa_exception_fp_ieee_underflow 0
		.amdhsa_exception_fp_ieee_inexact 0
		.amdhsa_exception_int_div_zero 0
	.end_amdhsa_kernel
	.section	.text._ZN9rocsparseL23extract_grab_nnz_kernelIllEEvT0_PKT_21rocsparse_index_base_Pl,"axG",@progbits,_ZN9rocsparseL23extract_grab_nnz_kernelIllEEvT0_PKT_21rocsparse_index_base_Pl,comdat
.Lfunc_end7:
	.size	_ZN9rocsparseL23extract_grab_nnz_kernelIllEEvT0_PKT_21rocsparse_index_base_Pl, .Lfunc_end7-_ZN9rocsparseL23extract_grab_nnz_kernelIllEEvT0_PKT_21rocsparse_index_base_Pl
                                        ; -- End function
	.set _ZN9rocsparseL23extract_grab_nnz_kernelIllEEvT0_PKT_21rocsparse_index_base_Pl.num_vgpr, 3
	.set _ZN9rocsparseL23extract_grab_nnz_kernelIllEEvT0_PKT_21rocsparse_index_base_Pl.num_agpr, 0
	.set _ZN9rocsparseL23extract_grab_nnz_kernelIllEEvT0_PKT_21rocsparse_index_base_Pl.numbered_sgpr, 10
	.set _ZN9rocsparseL23extract_grab_nnz_kernelIllEEvT0_PKT_21rocsparse_index_base_Pl.num_named_barrier, 0
	.set _ZN9rocsparseL23extract_grab_nnz_kernelIllEEvT0_PKT_21rocsparse_index_base_Pl.private_seg_size, 0
	.set _ZN9rocsparseL23extract_grab_nnz_kernelIllEEvT0_PKT_21rocsparse_index_base_Pl.uses_vcc, 0
	.set _ZN9rocsparseL23extract_grab_nnz_kernelIllEEvT0_PKT_21rocsparse_index_base_Pl.uses_flat_scratch, 0
	.set _ZN9rocsparseL23extract_grab_nnz_kernelIllEEvT0_PKT_21rocsparse_index_base_Pl.has_dyn_sized_stack, 0
	.set _ZN9rocsparseL23extract_grab_nnz_kernelIllEEvT0_PKT_21rocsparse_index_base_Pl.has_recursion, 0
	.set _ZN9rocsparseL23extract_grab_nnz_kernelIllEEvT0_PKT_21rocsparse_index_base_Pl.has_indirect_call, 0
	.section	.AMDGPU.csdata,"",@progbits
; Kernel info:
; codeLenInByte = 88
; TotalNumSgprs: 10
; NumVgprs: 3
; ScratchSize: 0
; MemoryBound: 1
; FloatMode: 240
; IeeeMode: 1
; LDSByteSize: 0 bytes/workgroup (compile time only)
; SGPRBlocks: 0
; VGPRBlocks: 0
; NumSGPRsForWavesPerEU: 10
; NumVGPRsForWavesPerEU: 3
; NamedBarCnt: 0
; Occupancy: 16
; WaveLimiterHint : 1
; COMPUTE_PGM_RSRC2:SCRATCH_EN: 0
; COMPUTE_PGM_RSRC2:USER_SGPR: 2
; COMPUTE_PGM_RSRC2:TRAP_HANDLER: 0
; COMPUTE_PGM_RSRC2:TGID_X_EN: 1
; COMPUTE_PGM_RSRC2:TGID_Y_EN: 0
; COMPUTE_PGM_RSRC2:TGID_Z_EN: 0
; COMPUTE_PGM_RSRC2:TIDIG_COMP_CNT: 0
	.section	.text._ZN9rocsparseL28internal_extract_fill_kernelILj1024EDF16_iiEEvT2_PKT1_PKS1_PKT0_21rocsparse_index_base_b20rocsparse_diag_type_S4_PS1_PS7_SA_,"axG",@progbits,_ZN9rocsparseL28internal_extract_fill_kernelILj1024EDF16_iiEEvT2_PKT1_PKS1_PKT0_21rocsparse_index_base_b20rocsparse_diag_type_S4_PS1_PS7_SA_,comdat
	.globl	_ZN9rocsparseL28internal_extract_fill_kernelILj1024EDF16_iiEEvT2_PKT1_PKS1_PKT0_21rocsparse_index_base_b20rocsparse_diag_type_S4_PS1_PS7_SA_ ; -- Begin function _ZN9rocsparseL28internal_extract_fill_kernelILj1024EDF16_iiEEvT2_PKT1_PKS1_PKT0_21rocsparse_index_base_b20rocsparse_diag_type_S4_PS1_PS7_SA_
	.p2align	8
	.type	_ZN9rocsparseL28internal_extract_fill_kernelILj1024EDF16_iiEEvT2_PKT1_PKS1_PKT0_21rocsparse_index_base_b20rocsparse_diag_type_S4_PS1_PS7_SA_,@function
_ZN9rocsparseL28internal_extract_fill_kernelILj1024EDF16_iiEEvT2_PKT1_PKS1_PKT0_21rocsparse_index_base_b20rocsparse_diag_type_S4_PS1_PS7_SA_: ; @_ZN9rocsparseL28internal_extract_fill_kernelILj1024EDF16_iiEEvT2_PKT1_PKS1_PKT0_21rocsparse_index_base_b20rocsparse_diag_type_S4_PS1_PS7_SA_
; %bb.0:
	s_clause 0x1
	s_load_b32 s2, s[0:1], 0x5c
	s_load_b32 s3, s[0:1], 0x0
	s_bfe_u32 s4, ttmp6, 0x4000c
	s_and_b32 s5, ttmp6, 15
	s_add_co_i32 s4, s4, 1
	s_getreg_b32 s6, hwreg(HW_REG_IB_STS2, 6, 4)
	s_mul_i32 s4, ttmp9, s4
	s_delay_alu instid0(SALU_CYCLE_1) | instskip(SKIP_4) | instid1(SALU_CYCLE_1)
	s_add_co_i32 s5, s5, s4
	s_wait_kmcnt 0x0
	s_and_b32 s2, s2, 0xffff
	s_cmp_eq_u32 s6, 0
	s_cselect_b32 s4, ttmp9, s5
	v_mad_u32 v0, s4, s2, v0
	s_mov_b32 s2, exec_lo
	s_delay_alu instid0(VALU_DEP_1)
	v_cmpx_gt_i32_e64 s3, v0
	s_cbranch_execz .LBB8_17
; %bb.1:
	s_load_b64 s[2:3], s[0:1], 0x8
	v_ashrrev_i32_e32 v1, 31, v0
	s_wait_kmcnt 0x0
	s_delay_alu instid0(VALU_DEP_1)
	v_lshl_add_u64 v[2:3], v[0:1], 2, s[2:3]
	global_load_b64 v[4:5], v[2:3], off
	s_wait_loadcnt 0x0
	v_cmp_lt_i32_e32 vcc_lo, v4, v5
	s_and_b32 exec_lo, exec_lo, vcc_lo
	s_cbranch_execz .LBB8_17
; %bb.2:
	s_load_b128 s[4:7], s[0:1], 0x30
	s_mov_b32 s2, 0
	s_wait_kmcnt 0x0
	v_lshl_add_u64 v[2:3], v[0:1], 2, s[4:5]
	global_load_b32 v6, v[2:3], off
	s_clause 0x2
	s_load_b96 s[8:10], s[0:1], 0x20
	s_load_b128 s[16:19], s[0:1], 0x10
	s_load_b96 s[12:14], s[0:1], 0x40
	s_wait_kmcnt 0x0
	v_subrev_nc_u32_e32 v2, s8, v4
	s_bitcmp1_b32 s9, 0
	v_subrev_nc_u32_e32 v1, s8, v5
	s_cselect_b32 s0, -1, 0
	s_delay_alu instid0(VALU_DEP_2) | instskip(SKIP_3) | instid1(VALU_DEP_1)
	v_ashrrev_i32_e32 v3, 31, v2
	s_xor_b32 s0, s0, -1
	s_cmp_lg_u32 s10, 1
	s_cselect_b32 s1, -1, 0
	v_lshl_add_u64 v[4:5], v[2:3], 2, s[16:17]
	s_wait_loadcnt 0x0
	v_subrev_nc_u32_e32 v8, s14, v6
	v_lshl_add_u64 v[6:7], v[2:3], 1, s[18:19]
	s_branch .LBB8_4
.LBB8_3:                                ;   in Loop: Header=BB8_4 Depth=1
	s_or_b32 exec_lo, exec_lo, s4
	v_add_nc_u32_e32 v2, 1, v2
	v_add_nc_u64_e32 v[4:5], 4, v[4:5]
	v_add_nc_u64_e32 v[6:7], 2, v[6:7]
	s_delay_alu instid0(VALU_DEP_3) | instskip(SKIP_1) | instid1(SALU_CYCLE_1)
	v_cmp_ge_i32_e32 vcc_lo, v2, v1
	s_or_b32 s2, vcc_lo, s2
	s_and_not1_b32 exec_lo, exec_lo, s2
	s_cbranch_execz .LBB8_17
.LBB8_4:                                ; =>This Inner Loop Header: Depth=1
	global_load_b32 v3, v[4:5], off
	s_and_b32 vcc_lo, exec_lo, s0
	s_mov_b32 s4, -1
                                        ; implicit-def: $sgpr3
	s_wait_loadcnt 0x0
	v_subrev_nc_u32_e32 v3, s8, v3
	s_cbranch_vccz .LBB8_10
; %bb.5:                                ;   in Loop: Header=BB8_4 Depth=1
	s_and_b32 vcc_lo, exec_lo, s1
                                        ; implicit-def: $sgpr3
	s_cbranch_vccz .LBB8_7
; %bb.6:                                ;   in Loop: Header=BB8_4 Depth=1
	s_delay_alu instid0(VALU_DEP_1)
	v_cmp_le_i32_e64 s3, v0, v3
	s_mov_b32 s4, 0
.LBB8_7:                                ;   in Loop: Header=BB8_4 Depth=1
	s_delay_alu instid0(SALU_CYCLE_1)
	s_and_not1_b32 vcc_lo, exec_lo, s4
	s_cbranch_vccnz .LBB8_9
; %bb.8:                                ;   in Loop: Header=BB8_4 Depth=1
	v_cmp_lt_i32_e32 vcc_lo, v0, v3
	s_and_not1_b32 s3, s3, exec_lo
	s_and_b32 s4, vcc_lo, exec_lo
	s_delay_alu instid0(SALU_CYCLE_1)
	s_or_b32 s3, s3, s4
.LBB8_9:                                ;   in Loop: Header=BB8_4 Depth=1
	s_mov_b32 s4, 0
.LBB8_10:                               ;   in Loop: Header=BB8_4 Depth=1
	s_delay_alu instid0(SALU_CYCLE_1)
	s_and_not1_b32 vcc_lo, exec_lo, s4
	s_cbranch_vccnz .LBB8_15
; %bb.11:                               ;   in Loop: Header=BB8_4 Depth=1
	s_and_b32 vcc_lo, exec_lo, s1
	s_mov_b32 s4, -1
                                        ; implicit-def: $sgpr3
	s_cbranch_vccz .LBB8_13
; %bb.12:                               ;   in Loop: Header=BB8_4 Depth=1
	v_cmp_ge_i32_e64 s3, v0, v3
	s_mov_b32 s4, 0
.LBB8_13:                               ;   in Loop: Header=BB8_4 Depth=1
	s_delay_alu instid0(SALU_CYCLE_1)
	s_and_not1_b32 vcc_lo, exec_lo, s4
	s_cbranch_vccnz .LBB8_15
; %bb.14:                               ;   in Loop: Header=BB8_4 Depth=1
	v_cmp_gt_i32_e32 vcc_lo, v0, v3
	s_and_not1_b32 s3, s3, exec_lo
	s_and_b32 s4, vcc_lo, exec_lo
	s_delay_alu instid0(SALU_CYCLE_1)
	s_or_b32 s3, s3, s4
.LBB8_15:                               ;   in Loop: Header=BB8_4 Depth=1
	s_wait_xcnt 0x0
	s_and_saveexec_b32 s4, s3
	s_cbranch_execz .LBB8_3
; %bb.16:                               ;   in Loop: Header=BB8_4 Depth=1
	global_load_u16 v9, v[6:7], off
	v_dual_add_nc_u32 v3, s14, v3 :: v_dual_add_nc_u32 v10, 1, v8
	global_store_b32 v8, v3, s[6:7] scale_offset
	s_wait_loadcnt 0x0
	global_store_b16 v8, v9, s[12:13] scale_offset
	s_wait_xcnt 0x0
	v_mov_b32_e32 v8, v10
	s_branch .LBB8_3
.LBB8_17:
	s_endpgm
	.section	.rodata,"a",@progbits
	.p2align	6, 0x0
	.amdhsa_kernel _ZN9rocsparseL28internal_extract_fill_kernelILj1024EDF16_iiEEvT2_PKT1_PKS1_PKT0_21rocsparse_index_base_b20rocsparse_diag_type_S4_PS1_PS7_SA_
		.amdhsa_group_segment_fixed_size 0
		.amdhsa_private_segment_fixed_size 0
		.amdhsa_kernarg_size 336
		.amdhsa_user_sgpr_count 2
		.amdhsa_user_sgpr_dispatch_ptr 0
		.amdhsa_user_sgpr_queue_ptr 0
		.amdhsa_user_sgpr_kernarg_segment_ptr 1
		.amdhsa_user_sgpr_dispatch_id 0
		.amdhsa_user_sgpr_kernarg_preload_length 0
		.amdhsa_user_sgpr_kernarg_preload_offset 0
		.amdhsa_user_sgpr_private_segment_size 0
		.amdhsa_wavefront_size32 1
		.amdhsa_uses_dynamic_stack 0
		.amdhsa_enable_private_segment 0
		.amdhsa_system_sgpr_workgroup_id_x 1
		.amdhsa_system_sgpr_workgroup_id_y 0
		.amdhsa_system_sgpr_workgroup_id_z 0
		.amdhsa_system_sgpr_workgroup_info 0
		.amdhsa_system_vgpr_workitem_id 0
		.amdhsa_next_free_vgpr 11
		.amdhsa_next_free_sgpr 20
		.amdhsa_named_barrier_count 0
		.amdhsa_reserve_vcc 1
		.amdhsa_float_round_mode_32 0
		.amdhsa_float_round_mode_16_64 0
		.amdhsa_float_denorm_mode_32 3
		.amdhsa_float_denorm_mode_16_64 3
		.amdhsa_fp16_overflow 0
		.amdhsa_memory_ordered 1
		.amdhsa_forward_progress 1
		.amdhsa_inst_pref_size 5
		.amdhsa_round_robin_scheduling 0
		.amdhsa_exception_fp_ieee_invalid_op 0
		.amdhsa_exception_fp_denorm_src 0
		.amdhsa_exception_fp_ieee_div_zero 0
		.amdhsa_exception_fp_ieee_overflow 0
		.amdhsa_exception_fp_ieee_underflow 0
		.amdhsa_exception_fp_ieee_inexact 0
		.amdhsa_exception_int_div_zero 0
	.end_amdhsa_kernel
	.section	.text._ZN9rocsparseL28internal_extract_fill_kernelILj1024EDF16_iiEEvT2_PKT1_PKS1_PKT0_21rocsparse_index_base_b20rocsparse_diag_type_S4_PS1_PS7_SA_,"axG",@progbits,_ZN9rocsparseL28internal_extract_fill_kernelILj1024EDF16_iiEEvT2_PKT1_PKS1_PKT0_21rocsparse_index_base_b20rocsparse_diag_type_S4_PS1_PS7_SA_,comdat
.Lfunc_end8:
	.size	_ZN9rocsparseL28internal_extract_fill_kernelILj1024EDF16_iiEEvT2_PKT1_PKS1_PKT0_21rocsparse_index_base_b20rocsparse_diag_type_S4_PS1_PS7_SA_, .Lfunc_end8-_ZN9rocsparseL28internal_extract_fill_kernelILj1024EDF16_iiEEvT2_PKT1_PKS1_PKT0_21rocsparse_index_base_b20rocsparse_diag_type_S4_PS1_PS7_SA_
                                        ; -- End function
	.set _ZN9rocsparseL28internal_extract_fill_kernelILj1024EDF16_iiEEvT2_PKT1_PKS1_PKT0_21rocsparse_index_base_b20rocsparse_diag_type_S4_PS1_PS7_SA_.num_vgpr, 11
	.set _ZN9rocsparseL28internal_extract_fill_kernelILj1024EDF16_iiEEvT2_PKT1_PKS1_PKT0_21rocsparse_index_base_b20rocsparse_diag_type_S4_PS1_PS7_SA_.num_agpr, 0
	.set _ZN9rocsparseL28internal_extract_fill_kernelILj1024EDF16_iiEEvT2_PKT1_PKS1_PKT0_21rocsparse_index_base_b20rocsparse_diag_type_S4_PS1_PS7_SA_.numbered_sgpr, 20
	.set _ZN9rocsparseL28internal_extract_fill_kernelILj1024EDF16_iiEEvT2_PKT1_PKS1_PKT0_21rocsparse_index_base_b20rocsparse_diag_type_S4_PS1_PS7_SA_.num_named_barrier, 0
	.set _ZN9rocsparseL28internal_extract_fill_kernelILj1024EDF16_iiEEvT2_PKT1_PKS1_PKT0_21rocsparse_index_base_b20rocsparse_diag_type_S4_PS1_PS7_SA_.private_seg_size, 0
	.set _ZN9rocsparseL28internal_extract_fill_kernelILj1024EDF16_iiEEvT2_PKT1_PKS1_PKT0_21rocsparse_index_base_b20rocsparse_diag_type_S4_PS1_PS7_SA_.uses_vcc, 1
	.set _ZN9rocsparseL28internal_extract_fill_kernelILj1024EDF16_iiEEvT2_PKT1_PKS1_PKT0_21rocsparse_index_base_b20rocsparse_diag_type_S4_PS1_PS7_SA_.uses_flat_scratch, 0
	.set _ZN9rocsparseL28internal_extract_fill_kernelILj1024EDF16_iiEEvT2_PKT1_PKS1_PKT0_21rocsparse_index_base_b20rocsparse_diag_type_S4_PS1_PS7_SA_.has_dyn_sized_stack, 0
	.set _ZN9rocsparseL28internal_extract_fill_kernelILj1024EDF16_iiEEvT2_PKT1_PKS1_PKT0_21rocsparse_index_base_b20rocsparse_diag_type_S4_PS1_PS7_SA_.has_recursion, 0
	.set _ZN9rocsparseL28internal_extract_fill_kernelILj1024EDF16_iiEEvT2_PKT1_PKS1_PKT0_21rocsparse_index_base_b20rocsparse_diag_type_S4_PS1_PS7_SA_.has_indirect_call, 0
	.section	.AMDGPU.csdata,"",@progbits
; Kernel info:
; codeLenInByte = 564
; TotalNumSgprs: 22
; NumVgprs: 11
; ScratchSize: 0
; MemoryBound: 0
; FloatMode: 240
; IeeeMode: 1
; LDSByteSize: 0 bytes/workgroup (compile time only)
; SGPRBlocks: 0
; VGPRBlocks: 0
; NumSGPRsForWavesPerEU: 22
; NumVGPRsForWavesPerEU: 11
; NamedBarCnt: 0
; Occupancy: 16
; WaveLimiterHint : 0
; COMPUTE_PGM_RSRC2:SCRATCH_EN: 0
; COMPUTE_PGM_RSRC2:USER_SGPR: 2
; COMPUTE_PGM_RSRC2:TRAP_HANDLER: 0
; COMPUTE_PGM_RSRC2:TGID_X_EN: 1
; COMPUTE_PGM_RSRC2:TGID_Y_EN: 0
; COMPUTE_PGM_RSRC2:TGID_Z_EN: 0
; COMPUTE_PGM_RSRC2:TIDIG_COMP_CNT: 0
	.section	.text._ZN9rocsparseL28internal_extract_fill_kernelILj1024EDF16_ilEEvT2_PKT1_PKS1_PKT0_21rocsparse_index_base_b20rocsparse_diag_type_S4_PS1_PS7_SA_,"axG",@progbits,_ZN9rocsparseL28internal_extract_fill_kernelILj1024EDF16_ilEEvT2_PKT1_PKS1_PKT0_21rocsparse_index_base_b20rocsparse_diag_type_S4_PS1_PS7_SA_,comdat
	.globl	_ZN9rocsparseL28internal_extract_fill_kernelILj1024EDF16_ilEEvT2_PKT1_PKS1_PKT0_21rocsparse_index_base_b20rocsparse_diag_type_S4_PS1_PS7_SA_ ; -- Begin function _ZN9rocsparseL28internal_extract_fill_kernelILj1024EDF16_ilEEvT2_PKT1_PKS1_PKT0_21rocsparse_index_base_b20rocsparse_diag_type_S4_PS1_PS7_SA_
	.p2align	8
	.type	_ZN9rocsparseL28internal_extract_fill_kernelILj1024EDF16_ilEEvT2_PKT1_PKS1_PKT0_21rocsparse_index_base_b20rocsparse_diag_type_S4_PS1_PS7_SA_,@function
_ZN9rocsparseL28internal_extract_fill_kernelILj1024EDF16_ilEEvT2_PKT1_PKS1_PKT0_21rocsparse_index_base_b20rocsparse_diag_type_S4_PS1_PS7_SA_: ; @_ZN9rocsparseL28internal_extract_fill_kernelILj1024EDF16_ilEEvT2_PKT1_PKS1_PKT0_21rocsparse_index_base_b20rocsparse_diag_type_S4_PS1_PS7_SA_
; %bb.0:
	s_clause 0x1
	s_load_b32 s4, s[0:1], 0x5c
	s_load_b64 s[2:3], s[0:1], 0x0
	s_bfe_u32 s5, ttmp6, 0x4000c
	s_and_b32 s6, ttmp6, 15
	s_add_co_i32 s5, s5, 1
	s_getreg_b32 s7, hwreg(HW_REG_IB_STS2, 6, 4)
	s_mul_i32 s5, ttmp9, s5
	s_delay_alu instid0(SALU_CYCLE_1) | instskip(SKIP_4) | instid1(SALU_CYCLE_1)
	s_add_co_i32 s6, s6, s5
	s_wait_kmcnt 0x0
	s_and_b32 s4, s4, 0xffff
	s_cmp_eq_u32 s7, 0
	s_cselect_b32 s5, ttmp9, s6
	v_mad_u32 v0, s5, s4, v0
	s_delay_alu instid0(VALU_DEP_1) | instskip(NEXT) | instid1(VALU_DEP_1)
	v_ashrrev_i32_e32 v1, 31, v0
	v_cmp_gt_i64_e32 vcc_lo, s[2:3], v[0:1]
	s_and_saveexec_b32 s2, vcc_lo
	s_cbranch_execz .LBB9_17
; %bb.1:
	s_load_b64 s[2:3], s[0:1], 0x8
	s_wait_kmcnt 0x0
	v_lshl_add_u64 v[2:3], v[0:1], 2, s[2:3]
	global_load_b64 v[2:3], v[2:3], off
	s_wait_loadcnt 0x0
	v_cmp_lt_i32_e32 vcc_lo, v2, v3
	s_and_b32 exec_lo, exec_lo, vcc_lo
	s_cbranch_execz .LBB9_17
; %bb.2:
	s_load_b128 s[4:7], s[0:1], 0x30
	s_wait_kmcnt 0x0
	v_lshl_add_u64 v[4:5], v[0:1], 2, s[4:5]
	global_load_b32 v6, v[4:5], off
	s_clause 0x2
	s_load_b96 s[8:10], s[0:1], 0x20
	s_load_b96 s[12:14], s[0:1], 0x40
	s_load_b128 s[16:19], s[0:1], 0x10
	s_wait_xcnt 0x0
	s_mov_b32 s1, 0
	s_delay_alu instid0(SALU_CYCLE_1)
	s_mov_b32 s4, s1
	s_wait_kmcnt 0x0
	v_subrev_nc_u32_e32 v2, s8, v2
	v_subrev_nc_u32_e32 v10, s8, v3
	s_bitcmp1_b32 s9, 0
	s_mov_b32 s0, s14
	s_cselect_b32 s2, -1, 0
	v_ashrrev_i32_e32 v3, 31, v2
	s_xor_b32 s2, s2, -1
	s_cmp_lg_u32 s10, 1
	s_mov_b32 s9, s1
	s_cselect_b32 s3, -1, 0
	v_lshl_add_u64 v[4:5], v[2:3], 3, s[16:17]
	s_wait_loadcnt 0x0
	v_subrev_nc_u32_e32 v11, s14, v6
	v_lshl_add_u64 v[6:7], v[2:3], 1, s[18:19]
	s_branch .LBB9_4
.LBB9_3:                                ;   in Loop: Header=BB9_4 Depth=1
	s_or_b32 exec_lo, exec_lo, s10
	v_add_nc_u32_e32 v2, 1, v2
	v_add_nc_u64_e32 v[4:5], 8, v[4:5]
	v_add_nc_u64_e32 v[6:7], 2, v[6:7]
	s_delay_alu instid0(VALU_DEP_3) | instskip(SKIP_1) | instid1(SALU_CYCLE_1)
	v_cmp_ge_i32_e32 vcc_lo, v2, v10
	s_or_b32 s4, vcc_lo, s4
	s_and_not1_b32 exec_lo, exec_lo, s4
	s_cbranch_execz .LBB9_17
.LBB9_4:                                ; =>This Inner Loop Header: Depth=1
	global_load_b64 v[8:9], v[4:5], off
	s_and_b32 vcc_lo, exec_lo, s2
	s_mov_b32 s10, -1
                                        ; implicit-def: $sgpr5
	s_wait_loadcnt 0x0
	v_sub_nc_u64_e64 v[8:9], v[8:9], s[8:9]
	s_cbranch_vccz .LBB9_10
; %bb.5:                                ;   in Loop: Header=BB9_4 Depth=1
	s_and_b32 vcc_lo, exec_lo, s3
                                        ; implicit-def: $sgpr5
	s_cbranch_vccz .LBB9_7
; %bb.6:                                ;   in Loop: Header=BB9_4 Depth=1
	s_delay_alu instid0(VALU_DEP_1)
	v_cmp_ge_i64_e64 s5, v[8:9], v[0:1]
	s_mov_b32 s10, 0
.LBB9_7:                                ;   in Loop: Header=BB9_4 Depth=1
	s_delay_alu instid0(SALU_CYCLE_1)
	s_and_not1_b32 vcc_lo, exec_lo, s10
	s_cbranch_vccnz .LBB9_9
; %bb.8:                                ;   in Loop: Header=BB9_4 Depth=1
	s_delay_alu instid0(VALU_DEP_1) | instskip(SKIP_2) | instid1(SALU_CYCLE_1)
	v_cmp_gt_i64_e32 vcc_lo, v[8:9], v[0:1]
	s_and_not1_b32 s5, s5, exec_lo
	s_and_b32 s10, vcc_lo, exec_lo
	s_or_b32 s5, s5, s10
.LBB9_9:                                ;   in Loop: Header=BB9_4 Depth=1
	s_mov_b32 s10, 0
.LBB9_10:                               ;   in Loop: Header=BB9_4 Depth=1
	s_delay_alu instid0(SALU_CYCLE_1)
	s_and_not1_b32 vcc_lo, exec_lo, s10
	s_cbranch_vccnz .LBB9_15
; %bb.11:                               ;   in Loop: Header=BB9_4 Depth=1
	s_and_b32 vcc_lo, exec_lo, s3
	s_mov_b32 s10, -1
                                        ; implicit-def: $sgpr5
	s_cbranch_vccz .LBB9_13
; %bb.12:                               ;   in Loop: Header=BB9_4 Depth=1
	v_cmp_le_i64_e64 s5, v[8:9], v[0:1]
	s_mov_b32 s10, 0
.LBB9_13:                               ;   in Loop: Header=BB9_4 Depth=1
	s_delay_alu instid0(SALU_CYCLE_1)
	s_and_not1_b32 vcc_lo, exec_lo, s10
	s_cbranch_vccnz .LBB9_15
; %bb.14:                               ;   in Loop: Header=BB9_4 Depth=1
	v_cmp_lt_i64_e32 vcc_lo, v[8:9], v[0:1]
	s_and_not1_b32 s5, s5, exec_lo
	s_and_b32 s10, vcc_lo, exec_lo
	s_delay_alu instid0(SALU_CYCLE_1)
	s_or_b32 s5, s5, s10
.LBB9_15:                               ;   in Loop: Header=BB9_4 Depth=1
	s_wait_xcnt 0x0
	s_and_saveexec_b32 s10, s5
	s_cbranch_execz .LBB9_3
; %bb.16:                               ;   in Loop: Header=BB9_4 Depth=1
	global_load_u16 v3, v[6:7], off
	v_add_nc_u64_e32 v[8:9], s[0:1], v[8:9]
	v_add_nc_u32_e32 v12, 1, v11
	global_store_b64 v11, v[8:9], s[6:7] scale_offset
	s_wait_loadcnt 0x0
	global_store_b16 v11, v3, s[12:13] scale_offset
	s_wait_xcnt 0x0
	v_mov_b32_e32 v11, v12
	s_branch .LBB9_3
.LBB9_17:
	s_endpgm
	.section	.rodata,"a",@progbits
	.p2align	6, 0x0
	.amdhsa_kernel _ZN9rocsparseL28internal_extract_fill_kernelILj1024EDF16_ilEEvT2_PKT1_PKS1_PKT0_21rocsparse_index_base_b20rocsparse_diag_type_S4_PS1_PS7_SA_
		.amdhsa_group_segment_fixed_size 0
		.amdhsa_private_segment_fixed_size 0
		.amdhsa_kernarg_size 336
		.amdhsa_user_sgpr_count 2
		.amdhsa_user_sgpr_dispatch_ptr 0
		.amdhsa_user_sgpr_queue_ptr 0
		.amdhsa_user_sgpr_kernarg_segment_ptr 1
		.amdhsa_user_sgpr_dispatch_id 0
		.amdhsa_user_sgpr_kernarg_preload_length 0
		.amdhsa_user_sgpr_kernarg_preload_offset 0
		.amdhsa_user_sgpr_private_segment_size 0
		.amdhsa_wavefront_size32 1
		.amdhsa_uses_dynamic_stack 0
		.amdhsa_enable_private_segment 0
		.amdhsa_system_sgpr_workgroup_id_x 1
		.amdhsa_system_sgpr_workgroup_id_y 0
		.amdhsa_system_sgpr_workgroup_id_z 0
		.amdhsa_system_sgpr_workgroup_info 0
		.amdhsa_system_vgpr_workitem_id 0
		.amdhsa_next_free_vgpr 13
		.amdhsa_next_free_sgpr 20
		.amdhsa_named_barrier_count 0
		.amdhsa_reserve_vcc 1
		.amdhsa_float_round_mode_32 0
		.amdhsa_float_round_mode_16_64 0
		.amdhsa_float_denorm_mode_32 3
		.amdhsa_float_denorm_mode_16_64 3
		.amdhsa_fp16_overflow 0
		.amdhsa_memory_ordered 1
		.amdhsa_forward_progress 1
		.amdhsa_inst_pref_size 5
		.amdhsa_round_robin_scheduling 0
		.amdhsa_exception_fp_ieee_invalid_op 0
		.amdhsa_exception_fp_denorm_src 0
		.amdhsa_exception_fp_ieee_div_zero 0
		.amdhsa_exception_fp_ieee_overflow 0
		.amdhsa_exception_fp_ieee_underflow 0
		.amdhsa_exception_fp_ieee_inexact 0
		.amdhsa_exception_int_div_zero 0
	.end_amdhsa_kernel
	.section	.text._ZN9rocsparseL28internal_extract_fill_kernelILj1024EDF16_ilEEvT2_PKT1_PKS1_PKT0_21rocsparse_index_base_b20rocsparse_diag_type_S4_PS1_PS7_SA_,"axG",@progbits,_ZN9rocsparseL28internal_extract_fill_kernelILj1024EDF16_ilEEvT2_PKT1_PKS1_PKT0_21rocsparse_index_base_b20rocsparse_diag_type_S4_PS1_PS7_SA_,comdat
.Lfunc_end9:
	.size	_ZN9rocsparseL28internal_extract_fill_kernelILj1024EDF16_ilEEvT2_PKT1_PKS1_PKT0_21rocsparse_index_base_b20rocsparse_diag_type_S4_PS1_PS7_SA_, .Lfunc_end9-_ZN9rocsparseL28internal_extract_fill_kernelILj1024EDF16_ilEEvT2_PKT1_PKS1_PKT0_21rocsparse_index_base_b20rocsparse_diag_type_S4_PS1_PS7_SA_
                                        ; -- End function
	.set _ZN9rocsparseL28internal_extract_fill_kernelILj1024EDF16_ilEEvT2_PKT1_PKS1_PKT0_21rocsparse_index_base_b20rocsparse_diag_type_S4_PS1_PS7_SA_.num_vgpr, 13
	.set _ZN9rocsparseL28internal_extract_fill_kernelILj1024EDF16_ilEEvT2_PKT1_PKS1_PKT0_21rocsparse_index_base_b20rocsparse_diag_type_S4_PS1_PS7_SA_.num_agpr, 0
	.set _ZN9rocsparseL28internal_extract_fill_kernelILj1024EDF16_ilEEvT2_PKT1_PKS1_PKT0_21rocsparse_index_base_b20rocsparse_diag_type_S4_PS1_PS7_SA_.numbered_sgpr, 20
	.set _ZN9rocsparseL28internal_extract_fill_kernelILj1024EDF16_ilEEvT2_PKT1_PKS1_PKT0_21rocsparse_index_base_b20rocsparse_diag_type_S4_PS1_PS7_SA_.num_named_barrier, 0
	.set _ZN9rocsparseL28internal_extract_fill_kernelILj1024EDF16_ilEEvT2_PKT1_PKS1_PKT0_21rocsparse_index_base_b20rocsparse_diag_type_S4_PS1_PS7_SA_.private_seg_size, 0
	.set _ZN9rocsparseL28internal_extract_fill_kernelILj1024EDF16_ilEEvT2_PKT1_PKS1_PKT0_21rocsparse_index_base_b20rocsparse_diag_type_S4_PS1_PS7_SA_.uses_vcc, 1
	.set _ZN9rocsparseL28internal_extract_fill_kernelILj1024EDF16_ilEEvT2_PKT1_PKS1_PKT0_21rocsparse_index_base_b20rocsparse_diag_type_S4_PS1_PS7_SA_.uses_flat_scratch, 0
	.set _ZN9rocsparseL28internal_extract_fill_kernelILj1024EDF16_ilEEvT2_PKT1_PKS1_PKT0_21rocsparse_index_base_b20rocsparse_diag_type_S4_PS1_PS7_SA_.has_dyn_sized_stack, 0
	.set _ZN9rocsparseL28internal_extract_fill_kernelILj1024EDF16_ilEEvT2_PKT1_PKS1_PKT0_21rocsparse_index_base_b20rocsparse_diag_type_S4_PS1_PS7_SA_.has_recursion, 0
	.set _ZN9rocsparseL28internal_extract_fill_kernelILj1024EDF16_ilEEvT2_PKT1_PKS1_PKT0_21rocsparse_index_base_b20rocsparse_diag_type_S4_PS1_PS7_SA_.has_indirect_call, 0
	.section	.AMDGPU.csdata,"",@progbits
; Kernel info:
; codeLenInByte = 572
; TotalNumSgprs: 22
; NumVgprs: 13
; ScratchSize: 0
; MemoryBound: 0
; FloatMode: 240
; IeeeMode: 1
; LDSByteSize: 0 bytes/workgroup (compile time only)
; SGPRBlocks: 0
; VGPRBlocks: 0
; NumSGPRsForWavesPerEU: 22
; NumVGPRsForWavesPerEU: 13
; NamedBarCnt: 0
; Occupancy: 16
; WaveLimiterHint : 0
; COMPUTE_PGM_RSRC2:SCRATCH_EN: 0
; COMPUTE_PGM_RSRC2:USER_SGPR: 2
; COMPUTE_PGM_RSRC2:TRAP_HANDLER: 0
; COMPUTE_PGM_RSRC2:TGID_X_EN: 1
; COMPUTE_PGM_RSRC2:TGID_Y_EN: 0
; COMPUTE_PGM_RSRC2:TGID_Z_EN: 0
; COMPUTE_PGM_RSRC2:TIDIG_COMP_CNT: 0
	.section	.text._ZN9rocsparseL28internal_extract_fill_kernelILj1024EDF16_liEEvT2_PKT1_PKS1_PKT0_21rocsparse_index_base_b20rocsparse_diag_type_S4_PS1_PS7_SA_,"axG",@progbits,_ZN9rocsparseL28internal_extract_fill_kernelILj1024EDF16_liEEvT2_PKT1_PKS1_PKT0_21rocsparse_index_base_b20rocsparse_diag_type_S4_PS1_PS7_SA_,comdat
	.globl	_ZN9rocsparseL28internal_extract_fill_kernelILj1024EDF16_liEEvT2_PKT1_PKS1_PKT0_21rocsparse_index_base_b20rocsparse_diag_type_S4_PS1_PS7_SA_ ; -- Begin function _ZN9rocsparseL28internal_extract_fill_kernelILj1024EDF16_liEEvT2_PKT1_PKS1_PKT0_21rocsparse_index_base_b20rocsparse_diag_type_S4_PS1_PS7_SA_
	.p2align	8
	.type	_ZN9rocsparseL28internal_extract_fill_kernelILj1024EDF16_liEEvT2_PKT1_PKS1_PKT0_21rocsparse_index_base_b20rocsparse_diag_type_S4_PS1_PS7_SA_,@function
_ZN9rocsparseL28internal_extract_fill_kernelILj1024EDF16_liEEvT2_PKT1_PKS1_PKT0_21rocsparse_index_base_b20rocsparse_diag_type_S4_PS1_PS7_SA_: ; @_ZN9rocsparseL28internal_extract_fill_kernelILj1024EDF16_liEEvT2_PKT1_PKS1_PKT0_21rocsparse_index_base_b20rocsparse_diag_type_S4_PS1_PS7_SA_
; %bb.0:
	s_clause 0x1
	s_load_b32 s2, s[0:1], 0x0
	s_load_b32 s4, s[0:1], 0x5c
	s_bfe_u32 s3, ttmp6, 0x4000c
	s_and_b32 s5, ttmp6, 15
	s_add_co_i32 s3, s3, 1
	s_getreg_b32 s6, hwreg(HW_REG_IB_STS2, 6, 4)
	s_mul_i32 s7, ttmp9, s3
	v_mov_b32_e32 v5, 0
	s_add_co_i32 s5, s5, s7
	s_wait_kmcnt 0x0
	s_ashr_i32 s3, s2, 31
	s_and_b32 s4, s4, 0xffff
	s_cmp_eq_u32 s6, 0
	s_cselect_b32 s5, ttmp9, s5
	s_delay_alu instid0(SALU_CYCLE_1) | instskip(NEXT) | instid1(VALU_DEP_1)
	v_mad_u32 v4, s5, s4, v0
	v_cmp_gt_i64_e32 vcc_lo, s[2:3], v[4:5]
	s_and_saveexec_b32 s2, vcc_lo
	s_cbranch_execz .LBB10_17
; %bb.1:
	s_load_b64 s[2:3], s[0:1], 0x8
	s_wait_kmcnt 0x0
	v_lshl_add_u64 v[0:1], v[4:5], 3, s[2:3]
	global_load_b128 v[0:3], v[0:1], off
	s_wait_loadcnt 0x0
	v_cmp_lt_i64_e32 vcc_lo, v[0:1], v[2:3]
	s_and_b32 exec_lo, exec_lo, vcc_lo
	s_cbranch_execz .LBB10_17
; %bb.2:
	s_load_b128 s[4:7], s[0:1], 0x30
	v_lshlrev_b64_e32 v[10:11], 2, v[0:1]
	s_wait_kmcnt 0x0
	v_lshl_add_u64 v[6:7], v[4:5], 3, s[4:5]
	global_load_b64 v[8:9], v[6:7], off
	s_clause 0x2
	s_load_b96 s[8:10], s[0:1], 0x20
	s_load_b96 s[12:14], s[0:1], 0x40
	s_load_b128 s[16:19], s[0:1], 0x10
	v_lshlrev_b64_e32 v[6:7], 1, v[0:1]
	s_wait_xcnt 0x0
	s_mov_b32 s1, 0
	s_wait_kmcnt 0x0
	s_bitcmp1_b32 s9, 0
	s_cselect_b32 s0, -1, 0
	s_delay_alu instid0(SALU_CYCLE_1)
	s_xor_b32 s2, s0, -1
	s_cmp_lg_u32 s10, 1
	s_mov_b32 s0, s8
	s_cselect_b32 s3, -1, 0
	s_lshl_b64 s[4:5], s[0:1], 1
	s_lshl_b64 s[10:11], s[0:1], 2
	v_sub_nc_u64_e64 v[6:7], v[6:7], s[4:5]
	v_sub_nc_u64_e64 v[12:13], v[10:11], s[10:11]
	s_mov_b32 s5, s1
	s_mov_b32 s4, s14
	v_sub_nc_u64_e64 v[2:3], v[2:3], s[0:1]
	v_sub_nc_u64_e64 v[0:1], v[0:1], s[0:1]
	s_delay_alu instid0(VALU_DEP_4)
	v_add_nc_u64_e32 v[6:7], s[18:19], v[6:7]
	s_wait_loadcnt 0x0
	v_sub_nc_u64_e64 v[10:11], v[8:9], s[4:5]
	v_add_nc_u64_e32 v[8:9], s[16:17], v[12:13]
	s_branch .LBB10_4
.LBB10_3:                               ;   in Loop: Header=BB10_4 Depth=1
	s_wait_xcnt 0x0
	s_or_b32 exec_lo, exec_lo, s4
	v_add_nc_u64_e32 v[0:1], 1, v[0:1]
	v_add_nc_u64_e32 v[6:7], 2, v[6:7]
	;; [unrolled: 1-line block ×3, first 2 shown]
	s_delay_alu instid0(VALU_DEP_3) | instskip(SKIP_1) | instid1(SALU_CYCLE_1)
	v_cmp_ge_i64_e32 vcc_lo, v[0:1], v[2:3]
	s_or_b32 s1, vcc_lo, s1
	s_and_not1_b32 exec_lo, exec_lo, s1
	s_cbranch_execz .LBB10_17
.LBB10_4:                               ; =>This Inner Loop Header: Depth=1
	global_load_b32 v5, v[8:9], off
	s_and_b32 vcc_lo, exec_lo, s2
	s_mov_b32 s4, -1
                                        ; implicit-def: $sgpr0
	s_wait_loadcnt 0x0
	v_subrev_nc_u32_e32 v5, s8, v5
	s_cbranch_vccz .LBB10_10
; %bb.5:                                ;   in Loop: Header=BB10_4 Depth=1
	s_and_b32 vcc_lo, exec_lo, s3
                                        ; implicit-def: $sgpr0
	s_cbranch_vccz .LBB10_7
; %bb.6:                                ;   in Loop: Header=BB10_4 Depth=1
	s_delay_alu instid0(VALU_DEP_1)
	v_cmp_le_i32_e64 s0, v4, v5
	s_mov_b32 s4, 0
.LBB10_7:                               ;   in Loop: Header=BB10_4 Depth=1
	s_delay_alu instid0(SALU_CYCLE_1)
	s_and_not1_b32 vcc_lo, exec_lo, s4
	s_cbranch_vccnz .LBB10_9
; %bb.8:                                ;   in Loop: Header=BB10_4 Depth=1
	v_cmp_lt_i32_e32 vcc_lo, v4, v5
	s_and_not1_b32 s0, s0, exec_lo
	s_and_b32 s4, vcc_lo, exec_lo
	s_delay_alu instid0(SALU_CYCLE_1)
	s_or_b32 s0, s0, s4
.LBB10_9:                               ;   in Loop: Header=BB10_4 Depth=1
	s_mov_b32 s4, 0
.LBB10_10:                              ;   in Loop: Header=BB10_4 Depth=1
	s_delay_alu instid0(SALU_CYCLE_1)
	s_and_not1_b32 vcc_lo, exec_lo, s4
	s_cbranch_vccnz .LBB10_15
; %bb.11:                               ;   in Loop: Header=BB10_4 Depth=1
	s_and_b32 vcc_lo, exec_lo, s3
	s_mov_b32 s4, -1
                                        ; implicit-def: $sgpr0
	s_cbranch_vccz .LBB10_13
; %bb.12:                               ;   in Loop: Header=BB10_4 Depth=1
	v_cmp_ge_i32_e64 s0, v4, v5
	s_mov_b32 s4, 0
.LBB10_13:                              ;   in Loop: Header=BB10_4 Depth=1
	s_delay_alu instid0(SALU_CYCLE_1)
	s_and_not1_b32 vcc_lo, exec_lo, s4
	s_cbranch_vccnz .LBB10_15
; %bb.14:                               ;   in Loop: Header=BB10_4 Depth=1
	v_cmp_gt_i32_e32 vcc_lo, v4, v5
	s_and_not1_b32 s0, s0, exec_lo
	s_and_b32 s4, vcc_lo, exec_lo
	s_delay_alu instid0(SALU_CYCLE_1)
	s_or_b32 s0, s0, s4
.LBB10_15:                              ;   in Loop: Header=BB10_4 Depth=1
	s_wait_xcnt 0x0
	s_and_saveexec_b32 s4, s0
	s_cbranch_execz .LBB10_3
; %bb.16:                               ;   in Loop: Header=BB10_4 Depth=1
	global_load_u16 v18, v[6:7], off
	v_add_nc_u64_e32 v[12:13], 1, v[10:11]
	v_lshl_add_u64 v[14:15], v[10:11], 2, s[6:7]
	v_lshl_add_u64 v[16:17], v[10:11], 1, s[12:13]
	v_add_nc_u32_e32 v5, s14, v5
	global_store_b32 v[14:15], v5, off
	s_wait_loadcnt 0x0
	global_store_b16 v[16:17], v18, off
	v_mov_b64_e32 v[10:11], v[12:13]
	s_branch .LBB10_3
.LBB10_17:
	s_endpgm
	.section	.rodata,"a",@progbits
	.p2align	6, 0x0
	.amdhsa_kernel _ZN9rocsparseL28internal_extract_fill_kernelILj1024EDF16_liEEvT2_PKT1_PKS1_PKT0_21rocsparse_index_base_b20rocsparse_diag_type_S4_PS1_PS7_SA_
		.amdhsa_group_segment_fixed_size 0
		.amdhsa_private_segment_fixed_size 0
		.amdhsa_kernarg_size 336
		.amdhsa_user_sgpr_count 2
		.amdhsa_user_sgpr_dispatch_ptr 0
		.amdhsa_user_sgpr_queue_ptr 0
		.amdhsa_user_sgpr_kernarg_segment_ptr 1
		.amdhsa_user_sgpr_dispatch_id 0
		.amdhsa_user_sgpr_kernarg_preload_length 0
		.amdhsa_user_sgpr_kernarg_preload_offset 0
		.amdhsa_user_sgpr_private_segment_size 0
		.amdhsa_wavefront_size32 1
		.amdhsa_uses_dynamic_stack 0
		.amdhsa_enable_private_segment 0
		.amdhsa_system_sgpr_workgroup_id_x 1
		.amdhsa_system_sgpr_workgroup_id_y 0
		.amdhsa_system_sgpr_workgroup_id_z 0
		.amdhsa_system_sgpr_workgroup_info 0
		.amdhsa_system_vgpr_workitem_id 0
		.amdhsa_next_free_vgpr 19
		.amdhsa_next_free_sgpr 20
		.amdhsa_named_barrier_count 0
		.amdhsa_reserve_vcc 1
		.amdhsa_float_round_mode_32 0
		.amdhsa_float_round_mode_16_64 0
		.amdhsa_float_denorm_mode_32 3
		.amdhsa_float_denorm_mode_16_64 3
		.amdhsa_fp16_overflow 0
		.amdhsa_memory_ordered 1
		.amdhsa_forward_progress 1
		.amdhsa_inst_pref_size 5
		.amdhsa_round_robin_scheduling 0
		.amdhsa_exception_fp_ieee_invalid_op 0
		.amdhsa_exception_fp_denorm_src 0
		.amdhsa_exception_fp_ieee_div_zero 0
		.amdhsa_exception_fp_ieee_overflow 0
		.amdhsa_exception_fp_ieee_underflow 0
		.amdhsa_exception_fp_ieee_inexact 0
		.amdhsa_exception_int_div_zero 0
	.end_amdhsa_kernel
	.section	.text._ZN9rocsparseL28internal_extract_fill_kernelILj1024EDF16_liEEvT2_PKT1_PKS1_PKT0_21rocsparse_index_base_b20rocsparse_diag_type_S4_PS1_PS7_SA_,"axG",@progbits,_ZN9rocsparseL28internal_extract_fill_kernelILj1024EDF16_liEEvT2_PKT1_PKS1_PKT0_21rocsparse_index_base_b20rocsparse_diag_type_S4_PS1_PS7_SA_,comdat
.Lfunc_end10:
	.size	_ZN9rocsparseL28internal_extract_fill_kernelILj1024EDF16_liEEvT2_PKT1_PKS1_PKT0_21rocsparse_index_base_b20rocsparse_diag_type_S4_PS1_PS7_SA_, .Lfunc_end10-_ZN9rocsparseL28internal_extract_fill_kernelILj1024EDF16_liEEvT2_PKT1_PKS1_PKT0_21rocsparse_index_base_b20rocsparse_diag_type_S4_PS1_PS7_SA_
                                        ; -- End function
	.set _ZN9rocsparseL28internal_extract_fill_kernelILj1024EDF16_liEEvT2_PKT1_PKS1_PKT0_21rocsparse_index_base_b20rocsparse_diag_type_S4_PS1_PS7_SA_.num_vgpr, 19
	.set _ZN9rocsparseL28internal_extract_fill_kernelILj1024EDF16_liEEvT2_PKT1_PKS1_PKT0_21rocsparse_index_base_b20rocsparse_diag_type_S4_PS1_PS7_SA_.num_agpr, 0
	.set _ZN9rocsparseL28internal_extract_fill_kernelILj1024EDF16_liEEvT2_PKT1_PKS1_PKT0_21rocsparse_index_base_b20rocsparse_diag_type_S4_PS1_PS7_SA_.numbered_sgpr, 20
	.set _ZN9rocsparseL28internal_extract_fill_kernelILj1024EDF16_liEEvT2_PKT1_PKS1_PKT0_21rocsparse_index_base_b20rocsparse_diag_type_S4_PS1_PS7_SA_.num_named_barrier, 0
	.set _ZN9rocsparseL28internal_extract_fill_kernelILj1024EDF16_liEEvT2_PKT1_PKS1_PKT0_21rocsparse_index_base_b20rocsparse_diag_type_S4_PS1_PS7_SA_.private_seg_size, 0
	.set _ZN9rocsparseL28internal_extract_fill_kernelILj1024EDF16_liEEvT2_PKT1_PKS1_PKT0_21rocsparse_index_base_b20rocsparse_diag_type_S4_PS1_PS7_SA_.uses_vcc, 1
	.set _ZN9rocsparseL28internal_extract_fill_kernelILj1024EDF16_liEEvT2_PKT1_PKS1_PKT0_21rocsparse_index_base_b20rocsparse_diag_type_S4_PS1_PS7_SA_.uses_flat_scratch, 0
	.set _ZN9rocsparseL28internal_extract_fill_kernelILj1024EDF16_liEEvT2_PKT1_PKS1_PKT0_21rocsparse_index_base_b20rocsparse_diag_type_S4_PS1_PS7_SA_.has_dyn_sized_stack, 0
	.set _ZN9rocsparseL28internal_extract_fill_kernelILj1024EDF16_liEEvT2_PKT1_PKS1_PKT0_21rocsparse_index_base_b20rocsparse_diag_type_S4_PS1_PS7_SA_.has_recursion, 0
	.set _ZN9rocsparseL28internal_extract_fill_kernelILj1024EDF16_liEEvT2_PKT1_PKS1_PKT0_21rocsparse_index_base_b20rocsparse_diag_type_S4_PS1_PS7_SA_.has_indirect_call, 0
	.section	.AMDGPU.csdata,"",@progbits
; Kernel info:
; codeLenInByte = 620
; TotalNumSgprs: 22
; NumVgprs: 19
; ScratchSize: 0
; MemoryBound: 0
; FloatMode: 240
; IeeeMode: 1
; LDSByteSize: 0 bytes/workgroup (compile time only)
; SGPRBlocks: 0
; VGPRBlocks: 1
; NumSGPRsForWavesPerEU: 22
; NumVGPRsForWavesPerEU: 19
; NamedBarCnt: 0
; Occupancy: 16
; WaveLimiterHint : 0
; COMPUTE_PGM_RSRC2:SCRATCH_EN: 0
; COMPUTE_PGM_RSRC2:USER_SGPR: 2
; COMPUTE_PGM_RSRC2:TRAP_HANDLER: 0
; COMPUTE_PGM_RSRC2:TGID_X_EN: 1
; COMPUTE_PGM_RSRC2:TGID_Y_EN: 0
; COMPUTE_PGM_RSRC2:TGID_Z_EN: 0
; COMPUTE_PGM_RSRC2:TIDIG_COMP_CNT: 0
	.section	.text._ZN9rocsparseL28internal_extract_fill_kernelILj1024EDF16_llEEvT2_PKT1_PKS1_PKT0_21rocsparse_index_base_b20rocsparse_diag_type_S4_PS1_PS7_SA_,"axG",@progbits,_ZN9rocsparseL28internal_extract_fill_kernelILj1024EDF16_llEEvT2_PKT1_PKS1_PKT0_21rocsparse_index_base_b20rocsparse_diag_type_S4_PS1_PS7_SA_,comdat
	.globl	_ZN9rocsparseL28internal_extract_fill_kernelILj1024EDF16_llEEvT2_PKT1_PKS1_PKT0_21rocsparse_index_base_b20rocsparse_diag_type_S4_PS1_PS7_SA_ ; -- Begin function _ZN9rocsparseL28internal_extract_fill_kernelILj1024EDF16_llEEvT2_PKT1_PKS1_PKT0_21rocsparse_index_base_b20rocsparse_diag_type_S4_PS1_PS7_SA_
	.p2align	8
	.type	_ZN9rocsparseL28internal_extract_fill_kernelILj1024EDF16_llEEvT2_PKT1_PKS1_PKT0_21rocsparse_index_base_b20rocsparse_diag_type_S4_PS1_PS7_SA_,@function
_ZN9rocsparseL28internal_extract_fill_kernelILj1024EDF16_llEEvT2_PKT1_PKS1_PKT0_21rocsparse_index_base_b20rocsparse_diag_type_S4_PS1_PS7_SA_: ; @_ZN9rocsparseL28internal_extract_fill_kernelILj1024EDF16_llEEvT2_PKT1_PKS1_PKT0_21rocsparse_index_base_b20rocsparse_diag_type_S4_PS1_PS7_SA_
; %bb.0:
	s_clause 0x1
	s_load_b32 s4, s[0:1], 0x5c
	s_load_b64 s[2:3], s[0:1], 0x0
	s_bfe_u32 s5, ttmp6, 0x4000c
	s_and_b32 s6, ttmp6, 15
	s_add_co_i32 s5, s5, 1
	s_getreg_b32 s7, hwreg(HW_REG_IB_STS2, 6, 4)
	s_mul_i32 s5, ttmp9, s5
	v_mov_b32_e32 v5, 0
	s_add_co_i32 s6, s6, s5
	s_wait_kmcnt 0x0
	s_and_b32 s4, s4, 0xffff
	s_cmp_eq_u32 s7, 0
	s_cselect_b32 s5, ttmp9, s6
	s_delay_alu instid0(SALU_CYCLE_1) | instskip(NEXT) | instid1(VALU_DEP_1)
	v_mad_u32 v4, s5, s4, v0
	v_cmp_gt_i64_e32 vcc_lo, s[2:3], v[4:5]
	s_and_saveexec_b32 s2, vcc_lo
	s_cbranch_execz .LBB11_17
; %bb.1:
	s_load_b64 s[2:3], s[0:1], 0x8
	s_wait_kmcnt 0x0
	v_lshl_add_u64 v[0:1], v[4:5], 3, s[2:3]
	global_load_b128 v[0:3], v[0:1], off
	s_wait_loadcnt 0x0
	v_cmp_lt_i64_e32 vcc_lo, v[0:1], v[2:3]
	s_and_b32 exec_lo, exec_lo, vcc_lo
	s_cbranch_execz .LBB11_17
; %bb.2:
	s_load_b128 s[4:7], s[0:1], 0x30
	v_lshlrev_b64_e32 v[10:11], 3, v[0:1]
	s_wait_kmcnt 0x0
	v_lshl_add_u64 v[6:7], v[4:5], 3, s[4:5]
	global_load_b64 v[8:9], v[6:7], off
	s_clause 0x2
	s_load_b96 s[16:18], s[0:1], 0x20
	s_load_b96 s[8:10], s[0:1], 0x40
	s_load_b128 s[12:15], s[0:1], 0x10
	v_lshlrev_b64_e32 v[6:7], 1, v[0:1]
	s_wait_xcnt 0x0
	s_mov_b32 s1, 0
	s_delay_alu instid0(SALU_CYCLE_1)
	s_mov_b32 s3, s1
	s_wait_kmcnt 0x0
	s_bitcmp1_b32 s17, 0
	s_mov_b32 s2, s16
	s_cselect_b32 s0, -1, 0
	v_sub_nc_u64_e64 v[2:3], v[2:3], s[2:3]
	s_xor_b32 s4, s0, -1
	s_cmp_lg_u32 s18, 1
	s_mov_b32 s0, s10
	s_cselect_b32 s5, -1, 0
	s_lshl_b64 s[16:17], s[2:3], 1
	s_lshl_b64 s[18:19], s[2:3], 3
	v_sub_nc_u64_e64 v[6:7], v[6:7], s[16:17]
	v_sub_nc_u64_e64 v[12:13], v[10:11], s[18:19]
	;; [unrolled: 1-line block ×3, first 2 shown]
	s_mov_b32 s10, s1
	s_delay_alu instid0(VALU_DEP_3) | instskip(SKIP_2) | instid1(VALU_DEP_4)
	v_add_nc_u64_e32 v[6:7], s[14:15], v[6:7]
	s_wait_loadcnt 0x0
	v_sub_nc_u64_e64 v[10:11], v[8:9], s[0:1]
	v_add_nc_u64_e32 v[8:9], s[12:13], v[12:13]
	s_branch .LBB11_4
.LBB11_3:                               ;   in Loop: Header=BB11_4 Depth=1
	s_wait_xcnt 0x0
	s_or_b32 exec_lo, exec_lo, s12
	v_add_nc_u64_e32 v[0:1], 1, v[0:1]
	v_add_nc_u64_e32 v[6:7], 2, v[6:7]
	;; [unrolled: 1-line block ×3, first 2 shown]
	s_delay_alu instid0(VALU_DEP_3) | instskip(SKIP_1) | instid1(SALU_CYCLE_1)
	v_cmp_ge_i64_e32 vcc_lo, v[0:1], v[2:3]
	s_or_b32 s10, vcc_lo, s10
	s_and_not1_b32 exec_lo, exec_lo, s10
	s_cbranch_execz .LBB11_17
.LBB11_4:                               ; =>This Inner Loop Header: Depth=1
	global_load_b64 v[12:13], v[8:9], off
	s_and_b32 vcc_lo, exec_lo, s4
	s_mov_b32 s12, -1
                                        ; implicit-def: $sgpr11
	s_wait_loadcnt 0x0
	v_sub_nc_u64_e64 v[12:13], v[12:13], s[2:3]
	s_cbranch_vccz .LBB11_10
; %bb.5:                                ;   in Loop: Header=BB11_4 Depth=1
	s_and_b32 vcc_lo, exec_lo, s5
                                        ; implicit-def: $sgpr11
	s_cbranch_vccz .LBB11_7
; %bb.6:                                ;   in Loop: Header=BB11_4 Depth=1
	s_delay_alu instid0(VALU_DEP_1)
	v_cmp_ge_i64_e64 s11, v[12:13], v[4:5]
	s_mov_b32 s12, 0
.LBB11_7:                               ;   in Loop: Header=BB11_4 Depth=1
	s_delay_alu instid0(SALU_CYCLE_1)
	s_and_not1_b32 vcc_lo, exec_lo, s12
	s_cbranch_vccnz .LBB11_9
; %bb.8:                                ;   in Loop: Header=BB11_4 Depth=1
	s_delay_alu instid0(VALU_DEP_1) | instskip(SKIP_2) | instid1(SALU_CYCLE_1)
	v_cmp_gt_i64_e32 vcc_lo, v[12:13], v[4:5]
	s_and_not1_b32 s11, s11, exec_lo
	s_and_b32 s12, vcc_lo, exec_lo
	s_or_b32 s11, s11, s12
.LBB11_9:                               ;   in Loop: Header=BB11_4 Depth=1
	s_mov_b32 s12, 0
.LBB11_10:                              ;   in Loop: Header=BB11_4 Depth=1
	s_delay_alu instid0(SALU_CYCLE_1)
	s_and_not1_b32 vcc_lo, exec_lo, s12
	s_cbranch_vccnz .LBB11_15
; %bb.11:                               ;   in Loop: Header=BB11_4 Depth=1
	s_and_b32 vcc_lo, exec_lo, s5
	s_mov_b32 s12, -1
                                        ; implicit-def: $sgpr11
	s_cbranch_vccz .LBB11_13
; %bb.12:                               ;   in Loop: Header=BB11_4 Depth=1
	v_cmp_le_i64_e64 s11, v[12:13], v[4:5]
	s_mov_b32 s12, 0
.LBB11_13:                              ;   in Loop: Header=BB11_4 Depth=1
	s_delay_alu instid0(SALU_CYCLE_1)
	s_and_not1_b32 vcc_lo, exec_lo, s12
	s_cbranch_vccnz .LBB11_15
; %bb.14:                               ;   in Loop: Header=BB11_4 Depth=1
	v_cmp_lt_i64_e32 vcc_lo, v[12:13], v[4:5]
	s_and_not1_b32 s11, s11, exec_lo
	s_and_b32 s12, vcc_lo, exec_lo
	s_delay_alu instid0(SALU_CYCLE_1)
	s_or_b32 s11, s11, s12
.LBB11_15:                              ;   in Loop: Header=BB11_4 Depth=1
	s_wait_xcnt 0x0
	s_and_saveexec_b32 s12, s11
	s_cbranch_execz .LBB11_3
; %bb.16:                               ;   in Loop: Header=BB11_4 Depth=1
	global_load_u16 v20, v[6:7], off
	v_add_nc_u64_e32 v[14:15], 1, v[10:11]
	v_add_nc_u64_e32 v[12:13], s[0:1], v[12:13]
	v_lshl_add_u64 v[16:17], v[10:11], 3, s[6:7]
	v_lshl_add_u64 v[18:19], v[10:11], 1, s[8:9]
	global_store_b64 v[16:17], v[12:13], off
	s_wait_loadcnt 0x0
	global_store_b16 v[18:19], v20, off
	v_mov_b64_e32 v[10:11], v[14:15]
	s_branch .LBB11_3
.LBB11_17:
	s_endpgm
	.section	.rodata,"a",@progbits
	.p2align	6, 0x0
	.amdhsa_kernel _ZN9rocsparseL28internal_extract_fill_kernelILj1024EDF16_llEEvT2_PKT1_PKS1_PKT0_21rocsparse_index_base_b20rocsparse_diag_type_S4_PS1_PS7_SA_
		.amdhsa_group_segment_fixed_size 0
		.amdhsa_private_segment_fixed_size 0
		.amdhsa_kernarg_size 336
		.amdhsa_user_sgpr_count 2
		.amdhsa_user_sgpr_dispatch_ptr 0
		.amdhsa_user_sgpr_queue_ptr 0
		.amdhsa_user_sgpr_kernarg_segment_ptr 1
		.amdhsa_user_sgpr_dispatch_id 0
		.amdhsa_user_sgpr_kernarg_preload_length 0
		.amdhsa_user_sgpr_kernarg_preload_offset 0
		.amdhsa_user_sgpr_private_segment_size 0
		.amdhsa_wavefront_size32 1
		.amdhsa_uses_dynamic_stack 0
		.amdhsa_enable_private_segment 0
		.amdhsa_system_sgpr_workgroup_id_x 1
		.amdhsa_system_sgpr_workgroup_id_y 0
		.amdhsa_system_sgpr_workgroup_id_z 0
		.amdhsa_system_sgpr_workgroup_info 0
		.amdhsa_system_vgpr_workitem_id 0
		.amdhsa_next_free_vgpr 21
		.amdhsa_next_free_sgpr 20
		.amdhsa_named_barrier_count 0
		.amdhsa_reserve_vcc 1
		.amdhsa_float_round_mode_32 0
		.amdhsa_float_round_mode_16_64 0
		.amdhsa_float_denorm_mode_32 3
		.amdhsa_float_denorm_mode_16_64 3
		.amdhsa_fp16_overflow 0
		.amdhsa_memory_ordered 1
		.amdhsa_forward_progress 1
		.amdhsa_inst_pref_size 5
		.amdhsa_round_robin_scheduling 0
		.amdhsa_exception_fp_ieee_invalid_op 0
		.amdhsa_exception_fp_denorm_src 0
		.amdhsa_exception_fp_ieee_div_zero 0
		.amdhsa_exception_fp_ieee_overflow 0
		.amdhsa_exception_fp_ieee_underflow 0
		.amdhsa_exception_fp_ieee_inexact 0
		.amdhsa_exception_int_div_zero 0
	.end_amdhsa_kernel
	.section	.text._ZN9rocsparseL28internal_extract_fill_kernelILj1024EDF16_llEEvT2_PKT1_PKS1_PKT0_21rocsparse_index_base_b20rocsparse_diag_type_S4_PS1_PS7_SA_,"axG",@progbits,_ZN9rocsparseL28internal_extract_fill_kernelILj1024EDF16_llEEvT2_PKT1_PKS1_PKT0_21rocsparse_index_base_b20rocsparse_diag_type_S4_PS1_PS7_SA_,comdat
.Lfunc_end11:
	.size	_ZN9rocsparseL28internal_extract_fill_kernelILj1024EDF16_llEEvT2_PKT1_PKS1_PKT0_21rocsparse_index_base_b20rocsparse_diag_type_S4_PS1_PS7_SA_, .Lfunc_end11-_ZN9rocsparseL28internal_extract_fill_kernelILj1024EDF16_llEEvT2_PKT1_PKS1_PKT0_21rocsparse_index_base_b20rocsparse_diag_type_S4_PS1_PS7_SA_
                                        ; -- End function
	.set _ZN9rocsparseL28internal_extract_fill_kernelILj1024EDF16_llEEvT2_PKT1_PKS1_PKT0_21rocsparse_index_base_b20rocsparse_diag_type_S4_PS1_PS7_SA_.num_vgpr, 21
	.set _ZN9rocsparseL28internal_extract_fill_kernelILj1024EDF16_llEEvT2_PKT1_PKS1_PKT0_21rocsparse_index_base_b20rocsparse_diag_type_S4_PS1_PS7_SA_.num_agpr, 0
	.set _ZN9rocsparseL28internal_extract_fill_kernelILj1024EDF16_llEEvT2_PKT1_PKS1_PKT0_21rocsparse_index_base_b20rocsparse_diag_type_S4_PS1_PS7_SA_.numbered_sgpr, 20
	.set _ZN9rocsparseL28internal_extract_fill_kernelILj1024EDF16_llEEvT2_PKT1_PKS1_PKT0_21rocsparse_index_base_b20rocsparse_diag_type_S4_PS1_PS7_SA_.num_named_barrier, 0
	.set _ZN9rocsparseL28internal_extract_fill_kernelILj1024EDF16_llEEvT2_PKT1_PKS1_PKT0_21rocsparse_index_base_b20rocsparse_diag_type_S4_PS1_PS7_SA_.private_seg_size, 0
	.set _ZN9rocsparseL28internal_extract_fill_kernelILj1024EDF16_llEEvT2_PKT1_PKS1_PKT0_21rocsparse_index_base_b20rocsparse_diag_type_S4_PS1_PS7_SA_.uses_vcc, 1
	.set _ZN9rocsparseL28internal_extract_fill_kernelILj1024EDF16_llEEvT2_PKT1_PKS1_PKT0_21rocsparse_index_base_b20rocsparse_diag_type_S4_PS1_PS7_SA_.uses_flat_scratch, 0
	.set _ZN9rocsparseL28internal_extract_fill_kernelILj1024EDF16_llEEvT2_PKT1_PKS1_PKT0_21rocsparse_index_base_b20rocsparse_diag_type_S4_PS1_PS7_SA_.has_dyn_sized_stack, 0
	.set _ZN9rocsparseL28internal_extract_fill_kernelILj1024EDF16_llEEvT2_PKT1_PKS1_PKT0_21rocsparse_index_base_b20rocsparse_diag_type_S4_PS1_PS7_SA_.has_recursion, 0
	.set _ZN9rocsparseL28internal_extract_fill_kernelILj1024EDF16_llEEvT2_PKT1_PKS1_PKT0_21rocsparse_index_base_b20rocsparse_diag_type_S4_PS1_PS7_SA_.has_indirect_call, 0
	.section	.AMDGPU.csdata,"",@progbits
; Kernel info:
; codeLenInByte = 624
; TotalNumSgprs: 22
; NumVgprs: 21
; ScratchSize: 0
; MemoryBound: 0
; FloatMode: 240
; IeeeMode: 1
; LDSByteSize: 0 bytes/workgroup (compile time only)
; SGPRBlocks: 0
; VGPRBlocks: 1
; NumSGPRsForWavesPerEU: 22
; NumVGPRsForWavesPerEU: 21
; NamedBarCnt: 0
; Occupancy: 16
; WaveLimiterHint : 0
; COMPUTE_PGM_RSRC2:SCRATCH_EN: 0
; COMPUTE_PGM_RSRC2:USER_SGPR: 2
; COMPUTE_PGM_RSRC2:TRAP_HANDLER: 0
; COMPUTE_PGM_RSRC2:TGID_X_EN: 1
; COMPUTE_PGM_RSRC2:TGID_Y_EN: 0
; COMPUTE_PGM_RSRC2:TGID_Z_EN: 0
; COMPUTE_PGM_RSRC2:TIDIG_COMP_CNT: 0
	.section	.text._ZN9rocsparseL28internal_extract_fill_kernelILj1024E18rocsparse_bfloat16iiEEvT2_PKT1_PKS2_PKT0_21rocsparse_index_base_b20rocsparse_diag_type_S5_PS2_PS8_SB_,"axG",@progbits,_ZN9rocsparseL28internal_extract_fill_kernelILj1024E18rocsparse_bfloat16iiEEvT2_PKT1_PKS2_PKT0_21rocsparse_index_base_b20rocsparse_diag_type_S5_PS2_PS8_SB_,comdat
	.globl	_ZN9rocsparseL28internal_extract_fill_kernelILj1024E18rocsparse_bfloat16iiEEvT2_PKT1_PKS2_PKT0_21rocsparse_index_base_b20rocsparse_diag_type_S5_PS2_PS8_SB_ ; -- Begin function _ZN9rocsparseL28internal_extract_fill_kernelILj1024E18rocsparse_bfloat16iiEEvT2_PKT1_PKS2_PKT0_21rocsparse_index_base_b20rocsparse_diag_type_S5_PS2_PS8_SB_
	.p2align	8
	.type	_ZN9rocsparseL28internal_extract_fill_kernelILj1024E18rocsparse_bfloat16iiEEvT2_PKT1_PKS2_PKT0_21rocsparse_index_base_b20rocsparse_diag_type_S5_PS2_PS8_SB_,@function
_ZN9rocsparseL28internal_extract_fill_kernelILj1024E18rocsparse_bfloat16iiEEvT2_PKT1_PKS2_PKT0_21rocsparse_index_base_b20rocsparse_diag_type_S5_PS2_PS8_SB_: ; @_ZN9rocsparseL28internal_extract_fill_kernelILj1024E18rocsparse_bfloat16iiEEvT2_PKT1_PKS2_PKT0_21rocsparse_index_base_b20rocsparse_diag_type_S5_PS2_PS8_SB_
; %bb.0:
	s_clause 0x1
	s_load_b32 s2, s[0:1], 0x5c
	s_load_b32 s3, s[0:1], 0x0
	s_bfe_u32 s4, ttmp6, 0x4000c
	s_and_b32 s5, ttmp6, 15
	s_add_co_i32 s4, s4, 1
	s_getreg_b32 s6, hwreg(HW_REG_IB_STS2, 6, 4)
	s_mul_i32 s4, ttmp9, s4
	s_delay_alu instid0(SALU_CYCLE_1) | instskip(SKIP_4) | instid1(SALU_CYCLE_1)
	s_add_co_i32 s5, s5, s4
	s_wait_kmcnt 0x0
	s_and_b32 s2, s2, 0xffff
	s_cmp_eq_u32 s6, 0
	s_cselect_b32 s4, ttmp9, s5
	v_mad_u32 v0, s4, s2, v0
	s_mov_b32 s2, exec_lo
	s_delay_alu instid0(VALU_DEP_1)
	v_cmpx_gt_i32_e64 s3, v0
	s_cbranch_execz .LBB12_17
; %bb.1:
	s_load_b64 s[2:3], s[0:1], 0x8
	v_ashrrev_i32_e32 v1, 31, v0
	s_wait_kmcnt 0x0
	s_delay_alu instid0(VALU_DEP_1)
	v_lshl_add_u64 v[2:3], v[0:1], 2, s[2:3]
	global_load_b64 v[4:5], v[2:3], off
	s_wait_loadcnt 0x0
	v_cmp_lt_i32_e32 vcc_lo, v4, v5
	s_and_b32 exec_lo, exec_lo, vcc_lo
	s_cbranch_execz .LBB12_17
; %bb.2:
	s_load_b128 s[4:7], s[0:1], 0x30
	s_mov_b32 s2, 0
	s_wait_kmcnt 0x0
	v_lshl_add_u64 v[2:3], v[0:1], 2, s[4:5]
	global_load_b32 v6, v[2:3], off
	s_clause 0x2
	s_load_b96 s[8:10], s[0:1], 0x20
	s_load_b128 s[16:19], s[0:1], 0x10
	s_load_b96 s[12:14], s[0:1], 0x40
	s_wait_kmcnt 0x0
	v_subrev_nc_u32_e32 v2, s8, v4
	s_bitcmp1_b32 s9, 0
	v_subrev_nc_u32_e32 v1, s8, v5
	s_cselect_b32 s0, -1, 0
	s_delay_alu instid0(VALU_DEP_2) | instskip(SKIP_3) | instid1(VALU_DEP_1)
	v_ashrrev_i32_e32 v3, 31, v2
	s_xor_b32 s0, s0, -1
	s_cmp_lg_u32 s10, 1
	s_cselect_b32 s1, -1, 0
	v_lshl_add_u64 v[4:5], v[2:3], 2, s[16:17]
	s_wait_loadcnt 0x0
	v_subrev_nc_u32_e32 v8, s14, v6
	v_lshl_add_u64 v[6:7], v[2:3], 1, s[18:19]
	s_branch .LBB12_4
.LBB12_3:                               ;   in Loop: Header=BB12_4 Depth=1
	s_or_b32 exec_lo, exec_lo, s4
	v_add_nc_u32_e32 v2, 1, v2
	v_add_nc_u64_e32 v[4:5], 4, v[4:5]
	v_add_nc_u64_e32 v[6:7], 2, v[6:7]
	s_delay_alu instid0(VALU_DEP_3) | instskip(SKIP_1) | instid1(SALU_CYCLE_1)
	v_cmp_ge_i32_e32 vcc_lo, v2, v1
	s_or_b32 s2, vcc_lo, s2
	s_and_not1_b32 exec_lo, exec_lo, s2
	s_cbranch_execz .LBB12_17
.LBB12_4:                               ; =>This Inner Loop Header: Depth=1
	global_load_b32 v3, v[4:5], off
	s_and_b32 vcc_lo, exec_lo, s0
	s_mov_b32 s4, -1
                                        ; implicit-def: $sgpr3
	s_wait_loadcnt 0x0
	v_subrev_nc_u32_e32 v3, s8, v3
	s_cbranch_vccz .LBB12_10
; %bb.5:                                ;   in Loop: Header=BB12_4 Depth=1
	s_and_b32 vcc_lo, exec_lo, s1
                                        ; implicit-def: $sgpr3
	s_cbranch_vccz .LBB12_7
; %bb.6:                                ;   in Loop: Header=BB12_4 Depth=1
	s_delay_alu instid0(VALU_DEP_1)
	v_cmp_le_i32_e64 s3, v0, v3
	s_mov_b32 s4, 0
.LBB12_7:                               ;   in Loop: Header=BB12_4 Depth=1
	s_delay_alu instid0(SALU_CYCLE_1)
	s_and_not1_b32 vcc_lo, exec_lo, s4
	s_cbranch_vccnz .LBB12_9
; %bb.8:                                ;   in Loop: Header=BB12_4 Depth=1
	v_cmp_lt_i32_e32 vcc_lo, v0, v3
	s_and_not1_b32 s3, s3, exec_lo
	s_and_b32 s4, vcc_lo, exec_lo
	s_delay_alu instid0(SALU_CYCLE_1)
	s_or_b32 s3, s3, s4
.LBB12_9:                               ;   in Loop: Header=BB12_4 Depth=1
	s_mov_b32 s4, 0
.LBB12_10:                              ;   in Loop: Header=BB12_4 Depth=1
	s_delay_alu instid0(SALU_CYCLE_1)
	s_and_not1_b32 vcc_lo, exec_lo, s4
	s_cbranch_vccnz .LBB12_15
; %bb.11:                               ;   in Loop: Header=BB12_4 Depth=1
	s_and_b32 vcc_lo, exec_lo, s1
	s_mov_b32 s4, -1
                                        ; implicit-def: $sgpr3
	s_cbranch_vccz .LBB12_13
; %bb.12:                               ;   in Loop: Header=BB12_4 Depth=1
	v_cmp_ge_i32_e64 s3, v0, v3
	s_mov_b32 s4, 0
.LBB12_13:                              ;   in Loop: Header=BB12_4 Depth=1
	s_delay_alu instid0(SALU_CYCLE_1)
	s_and_not1_b32 vcc_lo, exec_lo, s4
	s_cbranch_vccnz .LBB12_15
; %bb.14:                               ;   in Loop: Header=BB12_4 Depth=1
	v_cmp_gt_i32_e32 vcc_lo, v0, v3
	s_and_not1_b32 s3, s3, exec_lo
	s_and_b32 s4, vcc_lo, exec_lo
	s_delay_alu instid0(SALU_CYCLE_1)
	s_or_b32 s3, s3, s4
.LBB12_15:                              ;   in Loop: Header=BB12_4 Depth=1
	s_wait_xcnt 0x0
	s_and_saveexec_b32 s4, s3
	s_cbranch_execz .LBB12_3
; %bb.16:                               ;   in Loop: Header=BB12_4 Depth=1
	global_load_u16 v9, v[6:7], off
	v_dual_add_nc_u32 v3, s14, v3 :: v_dual_add_nc_u32 v10, 1, v8
	global_store_b32 v8, v3, s[6:7] scale_offset
	s_wait_loadcnt 0x0
	global_store_b16 v8, v9, s[12:13] scale_offset
	s_wait_xcnt 0x0
	v_mov_b32_e32 v8, v10
	s_branch .LBB12_3
.LBB12_17:
	s_endpgm
	.section	.rodata,"a",@progbits
	.p2align	6, 0x0
	.amdhsa_kernel _ZN9rocsparseL28internal_extract_fill_kernelILj1024E18rocsparse_bfloat16iiEEvT2_PKT1_PKS2_PKT0_21rocsparse_index_base_b20rocsparse_diag_type_S5_PS2_PS8_SB_
		.amdhsa_group_segment_fixed_size 0
		.amdhsa_private_segment_fixed_size 0
		.amdhsa_kernarg_size 336
		.amdhsa_user_sgpr_count 2
		.amdhsa_user_sgpr_dispatch_ptr 0
		.amdhsa_user_sgpr_queue_ptr 0
		.amdhsa_user_sgpr_kernarg_segment_ptr 1
		.amdhsa_user_sgpr_dispatch_id 0
		.amdhsa_user_sgpr_kernarg_preload_length 0
		.amdhsa_user_sgpr_kernarg_preload_offset 0
		.amdhsa_user_sgpr_private_segment_size 0
		.amdhsa_wavefront_size32 1
		.amdhsa_uses_dynamic_stack 0
		.amdhsa_enable_private_segment 0
		.amdhsa_system_sgpr_workgroup_id_x 1
		.amdhsa_system_sgpr_workgroup_id_y 0
		.amdhsa_system_sgpr_workgroup_id_z 0
		.amdhsa_system_sgpr_workgroup_info 0
		.amdhsa_system_vgpr_workitem_id 0
		.amdhsa_next_free_vgpr 11
		.amdhsa_next_free_sgpr 20
		.amdhsa_named_barrier_count 0
		.amdhsa_reserve_vcc 1
		.amdhsa_float_round_mode_32 0
		.amdhsa_float_round_mode_16_64 0
		.amdhsa_float_denorm_mode_32 3
		.amdhsa_float_denorm_mode_16_64 3
		.amdhsa_fp16_overflow 0
		.amdhsa_memory_ordered 1
		.amdhsa_forward_progress 1
		.amdhsa_inst_pref_size 5
		.amdhsa_round_robin_scheduling 0
		.amdhsa_exception_fp_ieee_invalid_op 0
		.amdhsa_exception_fp_denorm_src 0
		.amdhsa_exception_fp_ieee_div_zero 0
		.amdhsa_exception_fp_ieee_overflow 0
		.amdhsa_exception_fp_ieee_underflow 0
		.amdhsa_exception_fp_ieee_inexact 0
		.amdhsa_exception_int_div_zero 0
	.end_amdhsa_kernel
	.section	.text._ZN9rocsparseL28internal_extract_fill_kernelILj1024E18rocsparse_bfloat16iiEEvT2_PKT1_PKS2_PKT0_21rocsparse_index_base_b20rocsparse_diag_type_S5_PS2_PS8_SB_,"axG",@progbits,_ZN9rocsparseL28internal_extract_fill_kernelILj1024E18rocsparse_bfloat16iiEEvT2_PKT1_PKS2_PKT0_21rocsparse_index_base_b20rocsparse_diag_type_S5_PS2_PS8_SB_,comdat
.Lfunc_end12:
	.size	_ZN9rocsparseL28internal_extract_fill_kernelILj1024E18rocsparse_bfloat16iiEEvT2_PKT1_PKS2_PKT0_21rocsparse_index_base_b20rocsparse_diag_type_S5_PS2_PS8_SB_, .Lfunc_end12-_ZN9rocsparseL28internal_extract_fill_kernelILj1024E18rocsparse_bfloat16iiEEvT2_PKT1_PKS2_PKT0_21rocsparse_index_base_b20rocsparse_diag_type_S5_PS2_PS8_SB_
                                        ; -- End function
	.set _ZN9rocsparseL28internal_extract_fill_kernelILj1024E18rocsparse_bfloat16iiEEvT2_PKT1_PKS2_PKT0_21rocsparse_index_base_b20rocsparse_diag_type_S5_PS2_PS8_SB_.num_vgpr, 11
	.set _ZN9rocsparseL28internal_extract_fill_kernelILj1024E18rocsparse_bfloat16iiEEvT2_PKT1_PKS2_PKT0_21rocsparse_index_base_b20rocsparse_diag_type_S5_PS2_PS8_SB_.num_agpr, 0
	.set _ZN9rocsparseL28internal_extract_fill_kernelILj1024E18rocsparse_bfloat16iiEEvT2_PKT1_PKS2_PKT0_21rocsparse_index_base_b20rocsparse_diag_type_S5_PS2_PS8_SB_.numbered_sgpr, 20
	.set _ZN9rocsparseL28internal_extract_fill_kernelILj1024E18rocsparse_bfloat16iiEEvT2_PKT1_PKS2_PKT0_21rocsparse_index_base_b20rocsparse_diag_type_S5_PS2_PS8_SB_.num_named_barrier, 0
	.set _ZN9rocsparseL28internal_extract_fill_kernelILj1024E18rocsparse_bfloat16iiEEvT2_PKT1_PKS2_PKT0_21rocsparse_index_base_b20rocsparse_diag_type_S5_PS2_PS8_SB_.private_seg_size, 0
	.set _ZN9rocsparseL28internal_extract_fill_kernelILj1024E18rocsparse_bfloat16iiEEvT2_PKT1_PKS2_PKT0_21rocsparse_index_base_b20rocsparse_diag_type_S5_PS2_PS8_SB_.uses_vcc, 1
	.set _ZN9rocsparseL28internal_extract_fill_kernelILj1024E18rocsparse_bfloat16iiEEvT2_PKT1_PKS2_PKT0_21rocsparse_index_base_b20rocsparse_diag_type_S5_PS2_PS8_SB_.uses_flat_scratch, 0
	.set _ZN9rocsparseL28internal_extract_fill_kernelILj1024E18rocsparse_bfloat16iiEEvT2_PKT1_PKS2_PKT0_21rocsparse_index_base_b20rocsparse_diag_type_S5_PS2_PS8_SB_.has_dyn_sized_stack, 0
	.set _ZN9rocsparseL28internal_extract_fill_kernelILj1024E18rocsparse_bfloat16iiEEvT2_PKT1_PKS2_PKT0_21rocsparse_index_base_b20rocsparse_diag_type_S5_PS2_PS8_SB_.has_recursion, 0
	.set _ZN9rocsparseL28internal_extract_fill_kernelILj1024E18rocsparse_bfloat16iiEEvT2_PKT1_PKS2_PKT0_21rocsparse_index_base_b20rocsparse_diag_type_S5_PS2_PS8_SB_.has_indirect_call, 0
	.section	.AMDGPU.csdata,"",@progbits
; Kernel info:
; codeLenInByte = 564
; TotalNumSgprs: 22
; NumVgprs: 11
; ScratchSize: 0
; MemoryBound: 0
; FloatMode: 240
; IeeeMode: 1
; LDSByteSize: 0 bytes/workgroup (compile time only)
; SGPRBlocks: 0
; VGPRBlocks: 0
; NumSGPRsForWavesPerEU: 22
; NumVGPRsForWavesPerEU: 11
; NamedBarCnt: 0
; Occupancy: 16
; WaveLimiterHint : 0
; COMPUTE_PGM_RSRC2:SCRATCH_EN: 0
; COMPUTE_PGM_RSRC2:USER_SGPR: 2
; COMPUTE_PGM_RSRC2:TRAP_HANDLER: 0
; COMPUTE_PGM_RSRC2:TGID_X_EN: 1
; COMPUTE_PGM_RSRC2:TGID_Y_EN: 0
; COMPUTE_PGM_RSRC2:TGID_Z_EN: 0
; COMPUTE_PGM_RSRC2:TIDIG_COMP_CNT: 0
	.section	.text._ZN9rocsparseL28internal_extract_fill_kernelILj1024E18rocsparse_bfloat16ilEEvT2_PKT1_PKS2_PKT0_21rocsparse_index_base_b20rocsparse_diag_type_S5_PS2_PS8_SB_,"axG",@progbits,_ZN9rocsparseL28internal_extract_fill_kernelILj1024E18rocsparse_bfloat16ilEEvT2_PKT1_PKS2_PKT0_21rocsparse_index_base_b20rocsparse_diag_type_S5_PS2_PS8_SB_,comdat
	.globl	_ZN9rocsparseL28internal_extract_fill_kernelILj1024E18rocsparse_bfloat16ilEEvT2_PKT1_PKS2_PKT0_21rocsparse_index_base_b20rocsparse_diag_type_S5_PS2_PS8_SB_ ; -- Begin function _ZN9rocsparseL28internal_extract_fill_kernelILj1024E18rocsparse_bfloat16ilEEvT2_PKT1_PKS2_PKT0_21rocsparse_index_base_b20rocsparse_diag_type_S5_PS2_PS8_SB_
	.p2align	8
	.type	_ZN9rocsparseL28internal_extract_fill_kernelILj1024E18rocsparse_bfloat16ilEEvT2_PKT1_PKS2_PKT0_21rocsparse_index_base_b20rocsparse_diag_type_S5_PS2_PS8_SB_,@function
_ZN9rocsparseL28internal_extract_fill_kernelILj1024E18rocsparse_bfloat16ilEEvT2_PKT1_PKS2_PKT0_21rocsparse_index_base_b20rocsparse_diag_type_S5_PS2_PS8_SB_: ; @_ZN9rocsparseL28internal_extract_fill_kernelILj1024E18rocsparse_bfloat16ilEEvT2_PKT1_PKS2_PKT0_21rocsparse_index_base_b20rocsparse_diag_type_S5_PS2_PS8_SB_
; %bb.0:
	s_clause 0x1
	s_load_b32 s4, s[0:1], 0x5c
	s_load_b64 s[2:3], s[0:1], 0x0
	s_bfe_u32 s5, ttmp6, 0x4000c
	s_and_b32 s6, ttmp6, 15
	s_add_co_i32 s5, s5, 1
	s_getreg_b32 s7, hwreg(HW_REG_IB_STS2, 6, 4)
	s_mul_i32 s5, ttmp9, s5
	s_delay_alu instid0(SALU_CYCLE_1) | instskip(SKIP_4) | instid1(SALU_CYCLE_1)
	s_add_co_i32 s6, s6, s5
	s_wait_kmcnt 0x0
	s_and_b32 s4, s4, 0xffff
	s_cmp_eq_u32 s7, 0
	s_cselect_b32 s5, ttmp9, s6
	v_mad_u32 v0, s5, s4, v0
	s_delay_alu instid0(VALU_DEP_1) | instskip(NEXT) | instid1(VALU_DEP_1)
	v_ashrrev_i32_e32 v1, 31, v0
	v_cmp_gt_i64_e32 vcc_lo, s[2:3], v[0:1]
	s_and_saveexec_b32 s2, vcc_lo
	s_cbranch_execz .LBB13_17
; %bb.1:
	s_load_b64 s[2:3], s[0:1], 0x8
	s_wait_kmcnt 0x0
	v_lshl_add_u64 v[2:3], v[0:1], 2, s[2:3]
	global_load_b64 v[2:3], v[2:3], off
	s_wait_loadcnt 0x0
	v_cmp_lt_i32_e32 vcc_lo, v2, v3
	s_and_b32 exec_lo, exec_lo, vcc_lo
	s_cbranch_execz .LBB13_17
; %bb.2:
	s_load_b128 s[4:7], s[0:1], 0x30
	s_wait_kmcnt 0x0
	v_lshl_add_u64 v[4:5], v[0:1], 2, s[4:5]
	global_load_b32 v6, v[4:5], off
	s_clause 0x2
	s_load_b96 s[8:10], s[0:1], 0x20
	s_load_b96 s[12:14], s[0:1], 0x40
	s_load_b128 s[16:19], s[0:1], 0x10
	s_wait_xcnt 0x0
	s_mov_b32 s1, 0
	s_delay_alu instid0(SALU_CYCLE_1)
	s_mov_b32 s4, s1
	s_wait_kmcnt 0x0
	v_subrev_nc_u32_e32 v2, s8, v2
	v_subrev_nc_u32_e32 v10, s8, v3
	s_bitcmp1_b32 s9, 0
	s_mov_b32 s0, s14
	s_cselect_b32 s2, -1, 0
	v_ashrrev_i32_e32 v3, 31, v2
	s_xor_b32 s2, s2, -1
	s_cmp_lg_u32 s10, 1
	s_mov_b32 s9, s1
	s_cselect_b32 s3, -1, 0
	v_lshl_add_u64 v[4:5], v[2:3], 3, s[16:17]
	s_wait_loadcnt 0x0
	v_subrev_nc_u32_e32 v11, s14, v6
	v_lshl_add_u64 v[6:7], v[2:3], 1, s[18:19]
	s_branch .LBB13_4
.LBB13_3:                               ;   in Loop: Header=BB13_4 Depth=1
	s_or_b32 exec_lo, exec_lo, s10
	v_add_nc_u32_e32 v2, 1, v2
	v_add_nc_u64_e32 v[4:5], 8, v[4:5]
	v_add_nc_u64_e32 v[6:7], 2, v[6:7]
	s_delay_alu instid0(VALU_DEP_3) | instskip(SKIP_1) | instid1(SALU_CYCLE_1)
	v_cmp_ge_i32_e32 vcc_lo, v2, v10
	s_or_b32 s4, vcc_lo, s4
	s_and_not1_b32 exec_lo, exec_lo, s4
	s_cbranch_execz .LBB13_17
.LBB13_4:                               ; =>This Inner Loop Header: Depth=1
	global_load_b64 v[8:9], v[4:5], off
	s_and_b32 vcc_lo, exec_lo, s2
	s_mov_b32 s10, -1
                                        ; implicit-def: $sgpr5
	s_wait_loadcnt 0x0
	v_sub_nc_u64_e64 v[8:9], v[8:9], s[8:9]
	s_cbranch_vccz .LBB13_10
; %bb.5:                                ;   in Loop: Header=BB13_4 Depth=1
	s_and_b32 vcc_lo, exec_lo, s3
                                        ; implicit-def: $sgpr5
	s_cbranch_vccz .LBB13_7
; %bb.6:                                ;   in Loop: Header=BB13_4 Depth=1
	s_delay_alu instid0(VALU_DEP_1)
	v_cmp_ge_i64_e64 s5, v[8:9], v[0:1]
	s_mov_b32 s10, 0
.LBB13_7:                               ;   in Loop: Header=BB13_4 Depth=1
	s_delay_alu instid0(SALU_CYCLE_1)
	s_and_not1_b32 vcc_lo, exec_lo, s10
	s_cbranch_vccnz .LBB13_9
; %bb.8:                                ;   in Loop: Header=BB13_4 Depth=1
	s_delay_alu instid0(VALU_DEP_1) | instskip(SKIP_2) | instid1(SALU_CYCLE_1)
	v_cmp_gt_i64_e32 vcc_lo, v[8:9], v[0:1]
	s_and_not1_b32 s5, s5, exec_lo
	s_and_b32 s10, vcc_lo, exec_lo
	s_or_b32 s5, s5, s10
.LBB13_9:                               ;   in Loop: Header=BB13_4 Depth=1
	s_mov_b32 s10, 0
.LBB13_10:                              ;   in Loop: Header=BB13_4 Depth=1
	s_delay_alu instid0(SALU_CYCLE_1)
	s_and_not1_b32 vcc_lo, exec_lo, s10
	s_cbranch_vccnz .LBB13_15
; %bb.11:                               ;   in Loop: Header=BB13_4 Depth=1
	s_and_b32 vcc_lo, exec_lo, s3
	s_mov_b32 s10, -1
                                        ; implicit-def: $sgpr5
	s_cbranch_vccz .LBB13_13
; %bb.12:                               ;   in Loop: Header=BB13_4 Depth=1
	v_cmp_le_i64_e64 s5, v[8:9], v[0:1]
	s_mov_b32 s10, 0
.LBB13_13:                              ;   in Loop: Header=BB13_4 Depth=1
	s_delay_alu instid0(SALU_CYCLE_1)
	s_and_not1_b32 vcc_lo, exec_lo, s10
	s_cbranch_vccnz .LBB13_15
; %bb.14:                               ;   in Loop: Header=BB13_4 Depth=1
	v_cmp_lt_i64_e32 vcc_lo, v[8:9], v[0:1]
	s_and_not1_b32 s5, s5, exec_lo
	s_and_b32 s10, vcc_lo, exec_lo
	s_delay_alu instid0(SALU_CYCLE_1)
	s_or_b32 s5, s5, s10
.LBB13_15:                              ;   in Loop: Header=BB13_4 Depth=1
	s_wait_xcnt 0x0
	s_and_saveexec_b32 s10, s5
	s_cbranch_execz .LBB13_3
; %bb.16:                               ;   in Loop: Header=BB13_4 Depth=1
	global_load_u16 v3, v[6:7], off
	v_add_nc_u64_e32 v[8:9], s[0:1], v[8:9]
	v_add_nc_u32_e32 v12, 1, v11
	global_store_b64 v11, v[8:9], s[6:7] scale_offset
	s_wait_loadcnt 0x0
	global_store_b16 v11, v3, s[12:13] scale_offset
	s_wait_xcnt 0x0
	v_mov_b32_e32 v11, v12
	s_branch .LBB13_3
.LBB13_17:
	s_endpgm
	.section	.rodata,"a",@progbits
	.p2align	6, 0x0
	.amdhsa_kernel _ZN9rocsparseL28internal_extract_fill_kernelILj1024E18rocsparse_bfloat16ilEEvT2_PKT1_PKS2_PKT0_21rocsparse_index_base_b20rocsparse_diag_type_S5_PS2_PS8_SB_
		.amdhsa_group_segment_fixed_size 0
		.amdhsa_private_segment_fixed_size 0
		.amdhsa_kernarg_size 336
		.amdhsa_user_sgpr_count 2
		.amdhsa_user_sgpr_dispatch_ptr 0
		.amdhsa_user_sgpr_queue_ptr 0
		.amdhsa_user_sgpr_kernarg_segment_ptr 1
		.amdhsa_user_sgpr_dispatch_id 0
		.amdhsa_user_sgpr_kernarg_preload_length 0
		.amdhsa_user_sgpr_kernarg_preload_offset 0
		.amdhsa_user_sgpr_private_segment_size 0
		.amdhsa_wavefront_size32 1
		.amdhsa_uses_dynamic_stack 0
		.amdhsa_enable_private_segment 0
		.amdhsa_system_sgpr_workgroup_id_x 1
		.amdhsa_system_sgpr_workgroup_id_y 0
		.amdhsa_system_sgpr_workgroup_id_z 0
		.amdhsa_system_sgpr_workgroup_info 0
		.amdhsa_system_vgpr_workitem_id 0
		.amdhsa_next_free_vgpr 13
		.amdhsa_next_free_sgpr 20
		.amdhsa_named_barrier_count 0
		.amdhsa_reserve_vcc 1
		.amdhsa_float_round_mode_32 0
		.amdhsa_float_round_mode_16_64 0
		.amdhsa_float_denorm_mode_32 3
		.amdhsa_float_denorm_mode_16_64 3
		.amdhsa_fp16_overflow 0
		.amdhsa_memory_ordered 1
		.amdhsa_forward_progress 1
		.amdhsa_inst_pref_size 5
		.amdhsa_round_robin_scheduling 0
		.amdhsa_exception_fp_ieee_invalid_op 0
		.amdhsa_exception_fp_denorm_src 0
		.amdhsa_exception_fp_ieee_div_zero 0
		.amdhsa_exception_fp_ieee_overflow 0
		.amdhsa_exception_fp_ieee_underflow 0
		.amdhsa_exception_fp_ieee_inexact 0
		.amdhsa_exception_int_div_zero 0
	.end_amdhsa_kernel
	.section	.text._ZN9rocsparseL28internal_extract_fill_kernelILj1024E18rocsparse_bfloat16ilEEvT2_PKT1_PKS2_PKT0_21rocsparse_index_base_b20rocsparse_diag_type_S5_PS2_PS8_SB_,"axG",@progbits,_ZN9rocsparseL28internal_extract_fill_kernelILj1024E18rocsparse_bfloat16ilEEvT2_PKT1_PKS2_PKT0_21rocsparse_index_base_b20rocsparse_diag_type_S5_PS2_PS8_SB_,comdat
.Lfunc_end13:
	.size	_ZN9rocsparseL28internal_extract_fill_kernelILj1024E18rocsparse_bfloat16ilEEvT2_PKT1_PKS2_PKT0_21rocsparse_index_base_b20rocsparse_diag_type_S5_PS2_PS8_SB_, .Lfunc_end13-_ZN9rocsparseL28internal_extract_fill_kernelILj1024E18rocsparse_bfloat16ilEEvT2_PKT1_PKS2_PKT0_21rocsparse_index_base_b20rocsparse_diag_type_S5_PS2_PS8_SB_
                                        ; -- End function
	.set _ZN9rocsparseL28internal_extract_fill_kernelILj1024E18rocsparse_bfloat16ilEEvT2_PKT1_PKS2_PKT0_21rocsparse_index_base_b20rocsparse_diag_type_S5_PS2_PS8_SB_.num_vgpr, 13
	.set _ZN9rocsparseL28internal_extract_fill_kernelILj1024E18rocsparse_bfloat16ilEEvT2_PKT1_PKS2_PKT0_21rocsparse_index_base_b20rocsparse_diag_type_S5_PS2_PS8_SB_.num_agpr, 0
	.set _ZN9rocsparseL28internal_extract_fill_kernelILj1024E18rocsparse_bfloat16ilEEvT2_PKT1_PKS2_PKT0_21rocsparse_index_base_b20rocsparse_diag_type_S5_PS2_PS8_SB_.numbered_sgpr, 20
	.set _ZN9rocsparseL28internal_extract_fill_kernelILj1024E18rocsparse_bfloat16ilEEvT2_PKT1_PKS2_PKT0_21rocsparse_index_base_b20rocsparse_diag_type_S5_PS2_PS8_SB_.num_named_barrier, 0
	.set _ZN9rocsparseL28internal_extract_fill_kernelILj1024E18rocsparse_bfloat16ilEEvT2_PKT1_PKS2_PKT0_21rocsparse_index_base_b20rocsparse_diag_type_S5_PS2_PS8_SB_.private_seg_size, 0
	.set _ZN9rocsparseL28internal_extract_fill_kernelILj1024E18rocsparse_bfloat16ilEEvT2_PKT1_PKS2_PKT0_21rocsparse_index_base_b20rocsparse_diag_type_S5_PS2_PS8_SB_.uses_vcc, 1
	.set _ZN9rocsparseL28internal_extract_fill_kernelILj1024E18rocsparse_bfloat16ilEEvT2_PKT1_PKS2_PKT0_21rocsparse_index_base_b20rocsparse_diag_type_S5_PS2_PS8_SB_.uses_flat_scratch, 0
	.set _ZN9rocsparseL28internal_extract_fill_kernelILj1024E18rocsparse_bfloat16ilEEvT2_PKT1_PKS2_PKT0_21rocsparse_index_base_b20rocsparse_diag_type_S5_PS2_PS8_SB_.has_dyn_sized_stack, 0
	.set _ZN9rocsparseL28internal_extract_fill_kernelILj1024E18rocsparse_bfloat16ilEEvT2_PKT1_PKS2_PKT0_21rocsparse_index_base_b20rocsparse_diag_type_S5_PS2_PS8_SB_.has_recursion, 0
	.set _ZN9rocsparseL28internal_extract_fill_kernelILj1024E18rocsparse_bfloat16ilEEvT2_PKT1_PKS2_PKT0_21rocsparse_index_base_b20rocsparse_diag_type_S5_PS2_PS8_SB_.has_indirect_call, 0
	.section	.AMDGPU.csdata,"",@progbits
; Kernel info:
; codeLenInByte = 572
; TotalNumSgprs: 22
; NumVgprs: 13
; ScratchSize: 0
; MemoryBound: 0
; FloatMode: 240
; IeeeMode: 1
; LDSByteSize: 0 bytes/workgroup (compile time only)
; SGPRBlocks: 0
; VGPRBlocks: 0
; NumSGPRsForWavesPerEU: 22
; NumVGPRsForWavesPerEU: 13
; NamedBarCnt: 0
; Occupancy: 16
; WaveLimiterHint : 0
; COMPUTE_PGM_RSRC2:SCRATCH_EN: 0
; COMPUTE_PGM_RSRC2:USER_SGPR: 2
; COMPUTE_PGM_RSRC2:TRAP_HANDLER: 0
; COMPUTE_PGM_RSRC2:TGID_X_EN: 1
; COMPUTE_PGM_RSRC2:TGID_Y_EN: 0
; COMPUTE_PGM_RSRC2:TGID_Z_EN: 0
; COMPUTE_PGM_RSRC2:TIDIG_COMP_CNT: 0
	.section	.text._ZN9rocsparseL28internal_extract_fill_kernelILj1024E18rocsparse_bfloat16liEEvT2_PKT1_PKS2_PKT0_21rocsparse_index_base_b20rocsparse_diag_type_S5_PS2_PS8_SB_,"axG",@progbits,_ZN9rocsparseL28internal_extract_fill_kernelILj1024E18rocsparse_bfloat16liEEvT2_PKT1_PKS2_PKT0_21rocsparse_index_base_b20rocsparse_diag_type_S5_PS2_PS8_SB_,comdat
	.globl	_ZN9rocsparseL28internal_extract_fill_kernelILj1024E18rocsparse_bfloat16liEEvT2_PKT1_PKS2_PKT0_21rocsparse_index_base_b20rocsparse_diag_type_S5_PS2_PS8_SB_ ; -- Begin function _ZN9rocsparseL28internal_extract_fill_kernelILj1024E18rocsparse_bfloat16liEEvT2_PKT1_PKS2_PKT0_21rocsparse_index_base_b20rocsparse_diag_type_S5_PS2_PS8_SB_
	.p2align	8
	.type	_ZN9rocsparseL28internal_extract_fill_kernelILj1024E18rocsparse_bfloat16liEEvT2_PKT1_PKS2_PKT0_21rocsparse_index_base_b20rocsparse_diag_type_S5_PS2_PS8_SB_,@function
_ZN9rocsparseL28internal_extract_fill_kernelILj1024E18rocsparse_bfloat16liEEvT2_PKT1_PKS2_PKT0_21rocsparse_index_base_b20rocsparse_diag_type_S5_PS2_PS8_SB_: ; @_ZN9rocsparseL28internal_extract_fill_kernelILj1024E18rocsparse_bfloat16liEEvT2_PKT1_PKS2_PKT0_21rocsparse_index_base_b20rocsparse_diag_type_S5_PS2_PS8_SB_
; %bb.0:
	s_clause 0x1
	s_load_b32 s2, s[0:1], 0x0
	s_load_b32 s4, s[0:1], 0x5c
	s_bfe_u32 s3, ttmp6, 0x4000c
	s_and_b32 s5, ttmp6, 15
	s_add_co_i32 s3, s3, 1
	s_getreg_b32 s6, hwreg(HW_REG_IB_STS2, 6, 4)
	s_mul_i32 s7, ttmp9, s3
	v_mov_b32_e32 v5, 0
	s_add_co_i32 s5, s5, s7
	s_wait_kmcnt 0x0
	s_ashr_i32 s3, s2, 31
	s_and_b32 s4, s4, 0xffff
	s_cmp_eq_u32 s6, 0
	s_cselect_b32 s5, ttmp9, s5
	s_delay_alu instid0(SALU_CYCLE_1) | instskip(NEXT) | instid1(VALU_DEP_1)
	v_mad_u32 v4, s5, s4, v0
	v_cmp_gt_i64_e32 vcc_lo, s[2:3], v[4:5]
	s_and_saveexec_b32 s2, vcc_lo
	s_cbranch_execz .LBB14_17
; %bb.1:
	s_load_b64 s[2:3], s[0:1], 0x8
	s_wait_kmcnt 0x0
	v_lshl_add_u64 v[0:1], v[4:5], 3, s[2:3]
	global_load_b128 v[0:3], v[0:1], off
	s_wait_loadcnt 0x0
	v_cmp_lt_i64_e32 vcc_lo, v[0:1], v[2:3]
	s_and_b32 exec_lo, exec_lo, vcc_lo
	s_cbranch_execz .LBB14_17
; %bb.2:
	s_load_b128 s[4:7], s[0:1], 0x30
	v_lshlrev_b64_e32 v[10:11], 2, v[0:1]
	s_wait_kmcnt 0x0
	v_lshl_add_u64 v[6:7], v[4:5], 3, s[4:5]
	global_load_b64 v[8:9], v[6:7], off
	s_clause 0x2
	s_load_b96 s[8:10], s[0:1], 0x20
	s_load_b96 s[12:14], s[0:1], 0x40
	s_load_b128 s[16:19], s[0:1], 0x10
	v_lshlrev_b64_e32 v[6:7], 1, v[0:1]
	s_wait_xcnt 0x0
	s_mov_b32 s1, 0
	s_wait_kmcnt 0x0
	s_bitcmp1_b32 s9, 0
	s_cselect_b32 s0, -1, 0
	s_delay_alu instid0(SALU_CYCLE_1)
	s_xor_b32 s2, s0, -1
	s_cmp_lg_u32 s10, 1
	s_mov_b32 s0, s8
	s_cselect_b32 s3, -1, 0
	s_lshl_b64 s[4:5], s[0:1], 1
	s_lshl_b64 s[10:11], s[0:1], 2
	v_sub_nc_u64_e64 v[6:7], v[6:7], s[4:5]
	v_sub_nc_u64_e64 v[12:13], v[10:11], s[10:11]
	s_mov_b32 s5, s1
	s_mov_b32 s4, s14
	v_sub_nc_u64_e64 v[2:3], v[2:3], s[0:1]
	v_sub_nc_u64_e64 v[0:1], v[0:1], s[0:1]
	s_delay_alu instid0(VALU_DEP_4)
	v_add_nc_u64_e32 v[6:7], s[18:19], v[6:7]
	s_wait_loadcnt 0x0
	v_sub_nc_u64_e64 v[10:11], v[8:9], s[4:5]
	v_add_nc_u64_e32 v[8:9], s[16:17], v[12:13]
	s_branch .LBB14_4
.LBB14_3:                               ;   in Loop: Header=BB14_4 Depth=1
	s_wait_xcnt 0x0
	s_or_b32 exec_lo, exec_lo, s4
	v_add_nc_u64_e32 v[0:1], 1, v[0:1]
	v_add_nc_u64_e32 v[6:7], 2, v[6:7]
	;; [unrolled: 1-line block ×3, first 2 shown]
	s_delay_alu instid0(VALU_DEP_3) | instskip(SKIP_1) | instid1(SALU_CYCLE_1)
	v_cmp_ge_i64_e32 vcc_lo, v[0:1], v[2:3]
	s_or_b32 s1, vcc_lo, s1
	s_and_not1_b32 exec_lo, exec_lo, s1
	s_cbranch_execz .LBB14_17
.LBB14_4:                               ; =>This Inner Loop Header: Depth=1
	global_load_b32 v5, v[8:9], off
	s_and_b32 vcc_lo, exec_lo, s2
	s_mov_b32 s4, -1
                                        ; implicit-def: $sgpr0
	s_wait_loadcnt 0x0
	v_subrev_nc_u32_e32 v5, s8, v5
	s_cbranch_vccz .LBB14_10
; %bb.5:                                ;   in Loop: Header=BB14_4 Depth=1
	s_and_b32 vcc_lo, exec_lo, s3
                                        ; implicit-def: $sgpr0
	s_cbranch_vccz .LBB14_7
; %bb.6:                                ;   in Loop: Header=BB14_4 Depth=1
	s_delay_alu instid0(VALU_DEP_1)
	v_cmp_le_i32_e64 s0, v4, v5
	s_mov_b32 s4, 0
.LBB14_7:                               ;   in Loop: Header=BB14_4 Depth=1
	s_delay_alu instid0(SALU_CYCLE_1)
	s_and_not1_b32 vcc_lo, exec_lo, s4
	s_cbranch_vccnz .LBB14_9
; %bb.8:                                ;   in Loop: Header=BB14_4 Depth=1
	v_cmp_lt_i32_e32 vcc_lo, v4, v5
	s_and_not1_b32 s0, s0, exec_lo
	s_and_b32 s4, vcc_lo, exec_lo
	s_delay_alu instid0(SALU_CYCLE_1)
	s_or_b32 s0, s0, s4
.LBB14_9:                               ;   in Loop: Header=BB14_4 Depth=1
	s_mov_b32 s4, 0
.LBB14_10:                              ;   in Loop: Header=BB14_4 Depth=1
	s_delay_alu instid0(SALU_CYCLE_1)
	s_and_not1_b32 vcc_lo, exec_lo, s4
	s_cbranch_vccnz .LBB14_15
; %bb.11:                               ;   in Loop: Header=BB14_4 Depth=1
	s_and_b32 vcc_lo, exec_lo, s3
	s_mov_b32 s4, -1
                                        ; implicit-def: $sgpr0
	s_cbranch_vccz .LBB14_13
; %bb.12:                               ;   in Loop: Header=BB14_4 Depth=1
	v_cmp_ge_i32_e64 s0, v4, v5
	s_mov_b32 s4, 0
.LBB14_13:                              ;   in Loop: Header=BB14_4 Depth=1
	s_delay_alu instid0(SALU_CYCLE_1)
	s_and_not1_b32 vcc_lo, exec_lo, s4
	s_cbranch_vccnz .LBB14_15
; %bb.14:                               ;   in Loop: Header=BB14_4 Depth=1
	v_cmp_gt_i32_e32 vcc_lo, v4, v5
	s_and_not1_b32 s0, s0, exec_lo
	s_and_b32 s4, vcc_lo, exec_lo
	s_delay_alu instid0(SALU_CYCLE_1)
	s_or_b32 s0, s0, s4
.LBB14_15:                              ;   in Loop: Header=BB14_4 Depth=1
	s_wait_xcnt 0x0
	s_and_saveexec_b32 s4, s0
	s_cbranch_execz .LBB14_3
; %bb.16:                               ;   in Loop: Header=BB14_4 Depth=1
	global_load_u16 v18, v[6:7], off
	v_add_nc_u64_e32 v[12:13], 1, v[10:11]
	v_lshl_add_u64 v[14:15], v[10:11], 2, s[6:7]
	v_lshl_add_u64 v[16:17], v[10:11], 1, s[12:13]
	v_add_nc_u32_e32 v5, s14, v5
	global_store_b32 v[14:15], v5, off
	s_wait_loadcnt 0x0
	global_store_b16 v[16:17], v18, off
	v_mov_b64_e32 v[10:11], v[12:13]
	s_branch .LBB14_3
.LBB14_17:
	s_endpgm
	.section	.rodata,"a",@progbits
	.p2align	6, 0x0
	.amdhsa_kernel _ZN9rocsparseL28internal_extract_fill_kernelILj1024E18rocsparse_bfloat16liEEvT2_PKT1_PKS2_PKT0_21rocsparse_index_base_b20rocsparse_diag_type_S5_PS2_PS8_SB_
		.amdhsa_group_segment_fixed_size 0
		.amdhsa_private_segment_fixed_size 0
		.amdhsa_kernarg_size 336
		.amdhsa_user_sgpr_count 2
		.amdhsa_user_sgpr_dispatch_ptr 0
		.amdhsa_user_sgpr_queue_ptr 0
		.amdhsa_user_sgpr_kernarg_segment_ptr 1
		.amdhsa_user_sgpr_dispatch_id 0
		.amdhsa_user_sgpr_kernarg_preload_length 0
		.amdhsa_user_sgpr_kernarg_preload_offset 0
		.amdhsa_user_sgpr_private_segment_size 0
		.amdhsa_wavefront_size32 1
		.amdhsa_uses_dynamic_stack 0
		.amdhsa_enable_private_segment 0
		.amdhsa_system_sgpr_workgroup_id_x 1
		.amdhsa_system_sgpr_workgroup_id_y 0
		.amdhsa_system_sgpr_workgroup_id_z 0
		.amdhsa_system_sgpr_workgroup_info 0
		.amdhsa_system_vgpr_workitem_id 0
		.amdhsa_next_free_vgpr 19
		.amdhsa_next_free_sgpr 20
		.amdhsa_named_barrier_count 0
		.amdhsa_reserve_vcc 1
		.amdhsa_float_round_mode_32 0
		.amdhsa_float_round_mode_16_64 0
		.amdhsa_float_denorm_mode_32 3
		.amdhsa_float_denorm_mode_16_64 3
		.amdhsa_fp16_overflow 0
		.amdhsa_memory_ordered 1
		.amdhsa_forward_progress 1
		.amdhsa_inst_pref_size 5
		.amdhsa_round_robin_scheduling 0
		.amdhsa_exception_fp_ieee_invalid_op 0
		.amdhsa_exception_fp_denorm_src 0
		.amdhsa_exception_fp_ieee_div_zero 0
		.amdhsa_exception_fp_ieee_overflow 0
		.amdhsa_exception_fp_ieee_underflow 0
		.amdhsa_exception_fp_ieee_inexact 0
		.amdhsa_exception_int_div_zero 0
	.end_amdhsa_kernel
	.section	.text._ZN9rocsparseL28internal_extract_fill_kernelILj1024E18rocsparse_bfloat16liEEvT2_PKT1_PKS2_PKT0_21rocsparse_index_base_b20rocsparse_diag_type_S5_PS2_PS8_SB_,"axG",@progbits,_ZN9rocsparseL28internal_extract_fill_kernelILj1024E18rocsparse_bfloat16liEEvT2_PKT1_PKS2_PKT0_21rocsparse_index_base_b20rocsparse_diag_type_S5_PS2_PS8_SB_,comdat
.Lfunc_end14:
	.size	_ZN9rocsparseL28internal_extract_fill_kernelILj1024E18rocsparse_bfloat16liEEvT2_PKT1_PKS2_PKT0_21rocsparse_index_base_b20rocsparse_diag_type_S5_PS2_PS8_SB_, .Lfunc_end14-_ZN9rocsparseL28internal_extract_fill_kernelILj1024E18rocsparse_bfloat16liEEvT2_PKT1_PKS2_PKT0_21rocsparse_index_base_b20rocsparse_diag_type_S5_PS2_PS8_SB_
                                        ; -- End function
	.set _ZN9rocsparseL28internal_extract_fill_kernelILj1024E18rocsparse_bfloat16liEEvT2_PKT1_PKS2_PKT0_21rocsparse_index_base_b20rocsparse_diag_type_S5_PS2_PS8_SB_.num_vgpr, 19
	.set _ZN9rocsparseL28internal_extract_fill_kernelILj1024E18rocsparse_bfloat16liEEvT2_PKT1_PKS2_PKT0_21rocsparse_index_base_b20rocsparse_diag_type_S5_PS2_PS8_SB_.num_agpr, 0
	.set _ZN9rocsparseL28internal_extract_fill_kernelILj1024E18rocsparse_bfloat16liEEvT2_PKT1_PKS2_PKT0_21rocsparse_index_base_b20rocsparse_diag_type_S5_PS2_PS8_SB_.numbered_sgpr, 20
	.set _ZN9rocsparseL28internal_extract_fill_kernelILj1024E18rocsparse_bfloat16liEEvT2_PKT1_PKS2_PKT0_21rocsparse_index_base_b20rocsparse_diag_type_S5_PS2_PS8_SB_.num_named_barrier, 0
	.set _ZN9rocsparseL28internal_extract_fill_kernelILj1024E18rocsparse_bfloat16liEEvT2_PKT1_PKS2_PKT0_21rocsparse_index_base_b20rocsparse_diag_type_S5_PS2_PS8_SB_.private_seg_size, 0
	.set _ZN9rocsparseL28internal_extract_fill_kernelILj1024E18rocsparse_bfloat16liEEvT2_PKT1_PKS2_PKT0_21rocsparse_index_base_b20rocsparse_diag_type_S5_PS2_PS8_SB_.uses_vcc, 1
	.set _ZN9rocsparseL28internal_extract_fill_kernelILj1024E18rocsparse_bfloat16liEEvT2_PKT1_PKS2_PKT0_21rocsparse_index_base_b20rocsparse_diag_type_S5_PS2_PS8_SB_.uses_flat_scratch, 0
	.set _ZN9rocsparseL28internal_extract_fill_kernelILj1024E18rocsparse_bfloat16liEEvT2_PKT1_PKS2_PKT0_21rocsparse_index_base_b20rocsparse_diag_type_S5_PS2_PS8_SB_.has_dyn_sized_stack, 0
	.set _ZN9rocsparseL28internal_extract_fill_kernelILj1024E18rocsparse_bfloat16liEEvT2_PKT1_PKS2_PKT0_21rocsparse_index_base_b20rocsparse_diag_type_S5_PS2_PS8_SB_.has_recursion, 0
	.set _ZN9rocsparseL28internal_extract_fill_kernelILj1024E18rocsparse_bfloat16liEEvT2_PKT1_PKS2_PKT0_21rocsparse_index_base_b20rocsparse_diag_type_S5_PS2_PS8_SB_.has_indirect_call, 0
	.section	.AMDGPU.csdata,"",@progbits
; Kernel info:
; codeLenInByte = 620
; TotalNumSgprs: 22
; NumVgprs: 19
; ScratchSize: 0
; MemoryBound: 0
; FloatMode: 240
; IeeeMode: 1
; LDSByteSize: 0 bytes/workgroup (compile time only)
; SGPRBlocks: 0
; VGPRBlocks: 1
; NumSGPRsForWavesPerEU: 22
; NumVGPRsForWavesPerEU: 19
; NamedBarCnt: 0
; Occupancy: 16
; WaveLimiterHint : 0
; COMPUTE_PGM_RSRC2:SCRATCH_EN: 0
; COMPUTE_PGM_RSRC2:USER_SGPR: 2
; COMPUTE_PGM_RSRC2:TRAP_HANDLER: 0
; COMPUTE_PGM_RSRC2:TGID_X_EN: 1
; COMPUTE_PGM_RSRC2:TGID_Y_EN: 0
; COMPUTE_PGM_RSRC2:TGID_Z_EN: 0
; COMPUTE_PGM_RSRC2:TIDIG_COMP_CNT: 0
	.section	.text._ZN9rocsparseL28internal_extract_fill_kernelILj1024E18rocsparse_bfloat16llEEvT2_PKT1_PKS2_PKT0_21rocsparse_index_base_b20rocsparse_diag_type_S5_PS2_PS8_SB_,"axG",@progbits,_ZN9rocsparseL28internal_extract_fill_kernelILj1024E18rocsparse_bfloat16llEEvT2_PKT1_PKS2_PKT0_21rocsparse_index_base_b20rocsparse_diag_type_S5_PS2_PS8_SB_,comdat
	.globl	_ZN9rocsparseL28internal_extract_fill_kernelILj1024E18rocsparse_bfloat16llEEvT2_PKT1_PKS2_PKT0_21rocsparse_index_base_b20rocsparse_diag_type_S5_PS2_PS8_SB_ ; -- Begin function _ZN9rocsparseL28internal_extract_fill_kernelILj1024E18rocsparse_bfloat16llEEvT2_PKT1_PKS2_PKT0_21rocsparse_index_base_b20rocsparse_diag_type_S5_PS2_PS8_SB_
	.p2align	8
	.type	_ZN9rocsparseL28internal_extract_fill_kernelILj1024E18rocsparse_bfloat16llEEvT2_PKT1_PKS2_PKT0_21rocsparse_index_base_b20rocsparse_diag_type_S5_PS2_PS8_SB_,@function
_ZN9rocsparseL28internal_extract_fill_kernelILj1024E18rocsparse_bfloat16llEEvT2_PKT1_PKS2_PKT0_21rocsparse_index_base_b20rocsparse_diag_type_S5_PS2_PS8_SB_: ; @_ZN9rocsparseL28internal_extract_fill_kernelILj1024E18rocsparse_bfloat16llEEvT2_PKT1_PKS2_PKT0_21rocsparse_index_base_b20rocsparse_diag_type_S5_PS2_PS8_SB_
; %bb.0:
	s_clause 0x1
	s_load_b32 s4, s[0:1], 0x5c
	s_load_b64 s[2:3], s[0:1], 0x0
	s_bfe_u32 s5, ttmp6, 0x4000c
	s_and_b32 s6, ttmp6, 15
	s_add_co_i32 s5, s5, 1
	s_getreg_b32 s7, hwreg(HW_REG_IB_STS2, 6, 4)
	s_mul_i32 s5, ttmp9, s5
	v_mov_b32_e32 v5, 0
	s_add_co_i32 s6, s6, s5
	s_wait_kmcnt 0x0
	s_and_b32 s4, s4, 0xffff
	s_cmp_eq_u32 s7, 0
	s_cselect_b32 s5, ttmp9, s6
	s_delay_alu instid0(SALU_CYCLE_1) | instskip(NEXT) | instid1(VALU_DEP_1)
	v_mad_u32 v4, s5, s4, v0
	v_cmp_gt_i64_e32 vcc_lo, s[2:3], v[4:5]
	s_and_saveexec_b32 s2, vcc_lo
	s_cbranch_execz .LBB15_17
; %bb.1:
	s_load_b64 s[2:3], s[0:1], 0x8
	s_wait_kmcnt 0x0
	v_lshl_add_u64 v[0:1], v[4:5], 3, s[2:3]
	global_load_b128 v[0:3], v[0:1], off
	s_wait_loadcnt 0x0
	v_cmp_lt_i64_e32 vcc_lo, v[0:1], v[2:3]
	s_and_b32 exec_lo, exec_lo, vcc_lo
	s_cbranch_execz .LBB15_17
; %bb.2:
	s_load_b128 s[4:7], s[0:1], 0x30
	v_lshlrev_b64_e32 v[10:11], 3, v[0:1]
	s_wait_kmcnt 0x0
	v_lshl_add_u64 v[6:7], v[4:5], 3, s[4:5]
	global_load_b64 v[8:9], v[6:7], off
	s_clause 0x2
	s_load_b96 s[16:18], s[0:1], 0x20
	s_load_b96 s[8:10], s[0:1], 0x40
	s_load_b128 s[12:15], s[0:1], 0x10
	v_lshlrev_b64_e32 v[6:7], 1, v[0:1]
	s_wait_xcnt 0x0
	s_mov_b32 s1, 0
	s_delay_alu instid0(SALU_CYCLE_1)
	s_mov_b32 s3, s1
	s_wait_kmcnt 0x0
	s_bitcmp1_b32 s17, 0
	s_mov_b32 s2, s16
	s_cselect_b32 s0, -1, 0
	v_sub_nc_u64_e64 v[2:3], v[2:3], s[2:3]
	s_xor_b32 s4, s0, -1
	s_cmp_lg_u32 s18, 1
	s_mov_b32 s0, s10
	s_cselect_b32 s5, -1, 0
	s_lshl_b64 s[16:17], s[2:3], 1
	s_lshl_b64 s[18:19], s[2:3], 3
	v_sub_nc_u64_e64 v[6:7], v[6:7], s[16:17]
	v_sub_nc_u64_e64 v[12:13], v[10:11], s[18:19]
	;; [unrolled: 1-line block ×3, first 2 shown]
	s_mov_b32 s10, s1
	s_delay_alu instid0(VALU_DEP_3) | instskip(SKIP_2) | instid1(VALU_DEP_4)
	v_add_nc_u64_e32 v[6:7], s[14:15], v[6:7]
	s_wait_loadcnt 0x0
	v_sub_nc_u64_e64 v[10:11], v[8:9], s[0:1]
	v_add_nc_u64_e32 v[8:9], s[12:13], v[12:13]
	s_branch .LBB15_4
.LBB15_3:                               ;   in Loop: Header=BB15_4 Depth=1
	s_wait_xcnt 0x0
	s_or_b32 exec_lo, exec_lo, s12
	v_add_nc_u64_e32 v[0:1], 1, v[0:1]
	v_add_nc_u64_e32 v[6:7], 2, v[6:7]
	;; [unrolled: 1-line block ×3, first 2 shown]
	s_delay_alu instid0(VALU_DEP_3) | instskip(SKIP_1) | instid1(SALU_CYCLE_1)
	v_cmp_ge_i64_e32 vcc_lo, v[0:1], v[2:3]
	s_or_b32 s10, vcc_lo, s10
	s_and_not1_b32 exec_lo, exec_lo, s10
	s_cbranch_execz .LBB15_17
.LBB15_4:                               ; =>This Inner Loop Header: Depth=1
	global_load_b64 v[12:13], v[8:9], off
	s_and_b32 vcc_lo, exec_lo, s4
	s_mov_b32 s12, -1
                                        ; implicit-def: $sgpr11
	s_wait_loadcnt 0x0
	v_sub_nc_u64_e64 v[12:13], v[12:13], s[2:3]
	s_cbranch_vccz .LBB15_10
; %bb.5:                                ;   in Loop: Header=BB15_4 Depth=1
	s_and_b32 vcc_lo, exec_lo, s5
                                        ; implicit-def: $sgpr11
	s_cbranch_vccz .LBB15_7
; %bb.6:                                ;   in Loop: Header=BB15_4 Depth=1
	s_delay_alu instid0(VALU_DEP_1)
	v_cmp_ge_i64_e64 s11, v[12:13], v[4:5]
	s_mov_b32 s12, 0
.LBB15_7:                               ;   in Loop: Header=BB15_4 Depth=1
	s_delay_alu instid0(SALU_CYCLE_1)
	s_and_not1_b32 vcc_lo, exec_lo, s12
	s_cbranch_vccnz .LBB15_9
; %bb.8:                                ;   in Loop: Header=BB15_4 Depth=1
	s_delay_alu instid0(VALU_DEP_1) | instskip(SKIP_2) | instid1(SALU_CYCLE_1)
	v_cmp_gt_i64_e32 vcc_lo, v[12:13], v[4:5]
	s_and_not1_b32 s11, s11, exec_lo
	s_and_b32 s12, vcc_lo, exec_lo
	s_or_b32 s11, s11, s12
.LBB15_9:                               ;   in Loop: Header=BB15_4 Depth=1
	s_mov_b32 s12, 0
.LBB15_10:                              ;   in Loop: Header=BB15_4 Depth=1
	s_delay_alu instid0(SALU_CYCLE_1)
	s_and_not1_b32 vcc_lo, exec_lo, s12
	s_cbranch_vccnz .LBB15_15
; %bb.11:                               ;   in Loop: Header=BB15_4 Depth=1
	s_and_b32 vcc_lo, exec_lo, s5
	s_mov_b32 s12, -1
                                        ; implicit-def: $sgpr11
	s_cbranch_vccz .LBB15_13
; %bb.12:                               ;   in Loop: Header=BB15_4 Depth=1
	v_cmp_le_i64_e64 s11, v[12:13], v[4:5]
	s_mov_b32 s12, 0
.LBB15_13:                              ;   in Loop: Header=BB15_4 Depth=1
	s_delay_alu instid0(SALU_CYCLE_1)
	s_and_not1_b32 vcc_lo, exec_lo, s12
	s_cbranch_vccnz .LBB15_15
; %bb.14:                               ;   in Loop: Header=BB15_4 Depth=1
	v_cmp_lt_i64_e32 vcc_lo, v[12:13], v[4:5]
	s_and_not1_b32 s11, s11, exec_lo
	s_and_b32 s12, vcc_lo, exec_lo
	s_delay_alu instid0(SALU_CYCLE_1)
	s_or_b32 s11, s11, s12
.LBB15_15:                              ;   in Loop: Header=BB15_4 Depth=1
	s_wait_xcnt 0x0
	s_and_saveexec_b32 s12, s11
	s_cbranch_execz .LBB15_3
; %bb.16:                               ;   in Loop: Header=BB15_4 Depth=1
	global_load_u16 v20, v[6:7], off
	v_add_nc_u64_e32 v[14:15], 1, v[10:11]
	v_add_nc_u64_e32 v[12:13], s[0:1], v[12:13]
	v_lshl_add_u64 v[16:17], v[10:11], 3, s[6:7]
	v_lshl_add_u64 v[18:19], v[10:11], 1, s[8:9]
	global_store_b64 v[16:17], v[12:13], off
	s_wait_loadcnt 0x0
	global_store_b16 v[18:19], v20, off
	v_mov_b64_e32 v[10:11], v[14:15]
	s_branch .LBB15_3
.LBB15_17:
	s_endpgm
	.section	.rodata,"a",@progbits
	.p2align	6, 0x0
	.amdhsa_kernel _ZN9rocsparseL28internal_extract_fill_kernelILj1024E18rocsparse_bfloat16llEEvT2_PKT1_PKS2_PKT0_21rocsparse_index_base_b20rocsparse_diag_type_S5_PS2_PS8_SB_
		.amdhsa_group_segment_fixed_size 0
		.amdhsa_private_segment_fixed_size 0
		.amdhsa_kernarg_size 336
		.amdhsa_user_sgpr_count 2
		.amdhsa_user_sgpr_dispatch_ptr 0
		.amdhsa_user_sgpr_queue_ptr 0
		.amdhsa_user_sgpr_kernarg_segment_ptr 1
		.amdhsa_user_sgpr_dispatch_id 0
		.amdhsa_user_sgpr_kernarg_preload_length 0
		.amdhsa_user_sgpr_kernarg_preload_offset 0
		.amdhsa_user_sgpr_private_segment_size 0
		.amdhsa_wavefront_size32 1
		.amdhsa_uses_dynamic_stack 0
		.amdhsa_enable_private_segment 0
		.amdhsa_system_sgpr_workgroup_id_x 1
		.amdhsa_system_sgpr_workgroup_id_y 0
		.amdhsa_system_sgpr_workgroup_id_z 0
		.amdhsa_system_sgpr_workgroup_info 0
		.amdhsa_system_vgpr_workitem_id 0
		.amdhsa_next_free_vgpr 21
		.amdhsa_next_free_sgpr 20
		.amdhsa_named_barrier_count 0
		.amdhsa_reserve_vcc 1
		.amdhsa_float_round_mode_32 0
		.amdhsa_float_round_mode_16_64 0
		.amdhsa_float_denorm_mode_32 3
		.amdhsa_float_denorm_mode_16_64 3
		.amdhsa_fp16_overflow 0
		.amdhsa_memory_ordered 1
		.amdhsa_forward_progress 1
		.amdhsa_inst_pref_size 5
		.amdhsa_round_robin_scheduling 0
		.amdhsa_exception_fp_ieee_invalid_op 0
		.amdhsa_exception_fp_denorm_src 0
		.amdhsa_exception_fp_ieee_div_zero 0
		.amdhsa_exception_fp_ieee_overflow 0
		.amdhsa_exception_fp_ieee_underflow 0
		.amdhsa_exception_fp_ieee_inexact 0
		.amdhsa_exception_int_div_zero 0
	.end_amdhsa_kernel
	.section	.text._ZN9rocsparseL28internal_extract_fill_kernelILj1024E18rocsparse_bfloat16llEEvT2_PKT1_PKS2_PKT0_21rocsparse_index_base_b20rocsparse_diag_type_S5_PS2_PS8_SB_,"axG",@progbits,_ZN9rocsparseL28internal_extract_fill_kernelILj1024E18rocsparse_bfloat16llEEvT2_PKT1_PKS2_PKT0_21rocsparse_index_base_b20rocsparse_diag_type_S5_PS2_PS8_SB_,comdat
.Lfunc_end15:
	.size	_ZN9rocsparseL28internal_extract_fill_kernelILj1024E18rocsparse_bfloat16llEEvT2_PKT1_PKS2_PKT0_21rocsparse_index_base_b20rocsparse_diag_type_S5_PS2_PS8_SB_, .Lfunc_end15-_ZN9rocsparseL28internal_extract_fill_kernelILj1024E18rocsparse_bfloat16llEEvT2_PKT1_PKS2_PKT0_21rocsparse_index_base_b20rocsparse_diag_type_S5_PS2_PS8_SB_
                                        ; -- End function
	.set _ZN9rocsparseL28internal_extract_fill_kernelILj1024E18rocsparse_bfloat16llEEvT2_PKT1_PKS2_PKT0_21rocsparse_index_base_b20rocsparse_diag_type_S5_PS2_PS8_SB_.num_vgpr, 21
	.set _ZN9rocsparseL28internal_extract_fill_kernelILj1024E18rocsparse_bfloat16llEEvT2_PKT1_PKS2_PKT0_21rocsparse_index_base_b20rocsparse_diag_type_S5_PS2_PS8_SB_.num_agpr, 0
	.set _ZN9rocsparseL28internal_extract_fill_kernelILj1024E18rocsparse_bfloat16llEEvT2_PKT1_PKS2_PKT0_21rocsparse_index_base_b20rocsparse_diag_type_S5_PS2_PS8_SB_.numbered_sgpr, 20
	.set _ZN9rocsparseL28internal_extract_fill_kernelILj1024E18rocsparse_bfloat16llEEvT2_PKT1_PKS2_PKT0_21rocsparse_index_base_b20rocsparse_diag_type_S5_PS2_PS8_SB_.num_named_barrier, 0
	.set _ZN9rocsparseL28internal_extract_fill_kernelILj1024E18rocsparse_bfloat16llEEvT2_PKT1_PKS2_PKT0_21rocsparse_index_base_b20rocsparse_diag_type_S5_PS2_PS8_SB_.private_seg_size, 0
	.set _ZN9rocsparseL28internal_extract_fill_kernelILj1024E18rocsparse_bfloat16llEEvT2_PKT1_PKS2_PKT0_21rocsparse_index_base_b20rocsparse_diag_type_S5_PS2_PS8_SB_.uses_vcc, 1
	.set _ZN9rocsparseL28internal_extract_fill_kernelILj1024E18rocsparse_bfloat16llEEvT2_PKT1_PKS2_PKT0_21rocsparse_index_base_b20rocsparse_diag_type_S5_PS2_PS8_SB_.uses_flat_scratch, 0
	.set _ZN9rocsparseL28internal_extract_fill_kernelILj1024E18rocsparse_bfloat16llEEvT2_PKT1_PKS2_PKT0_21rocsparse_index_base_b20rocsparse_diag_type_S5_PS2_PS8_SB_.has_dyn_sized_stack, 0
	.set _ZN9rocsparseL28internal_extract_fill_kernelILj1024E18rocsparse_bfloat16llEEvT2_PKT1_PKS2_PKT0_21rocsparse_index_base_b20rocsparse_diag_type_S5_PS2_PS8_SB_.has_recursion, 0
	.set _ZN9rocsparseL28internal_extract_fill_kernelILj1024E18rocsparse_bfloat16llEEvT2_PKT1_PKS2_PKT0_21rocsparse_index_base_b20rocsparse_diag_type_S5_PS2_PS8_SB_.has_indirect_call, 0
	.section	.AMDGPU.csdata,"",@progbits
; Kernel info:
; codeLenInByte = 624
; TotalNumSgprs: 22
; NumVgprs: 21
; ScratchSize: 0
; MemoryBound: 0
; FloatMode: 240
; IeeeMode: 1
; LDSByteSize: 0 bytes/workgroup (compile time only)
; SGPRBlocks: 0
; VGPRBlocks: 1
; NumSGPRsForWavesPerEU: 22
; NumVGPRsForWavesPerEU: 21
; NamedBarCnt: 0
; Occupancy: 16
; WaveLimiterHint : 0
; COMPUTE_PGM_RSRC2:SCRATCH_EN: 0
; COMPUTE_PGM_RSRC2:USER_SGPR: 2
; COMPUTE_PGM_RSRC2:TRAP_HANDLER: 0
; COMPUTE_PGM_RSRC2:TGID_X_EN: 1
; COMPUTE_PGM_RSRC2:TGID_Y_EN: 0
; COMPUTE_PGM_RSRC2:TGID_Z_EN: 0
; COMPUTE_PGM_RSRC2:TIDIG_COMP_CNT: 0
	.section	.text._ZN9rocsparseL28internal_extract_fill_kernelILj1024EfiiEEvT2_PKT1_PKS1_PKT0_21rocsparse_index_base_b20rocsparse_diag_type_S4_PS1_PS7_SA_,"axG",@progbits,_ZN9rocsparseL28internal_extract_fill_kernelILj1024EfiiEEvT2_PKT1_PKS1_PKT0_21rocsparse_index_base_b20rocsparse_diag_type_S4_PS1_PS7_SA_,comdat
	.globl	_ZN9rocsparseL28internal_extract_fill_kernelILj1024EfiiEEvT2_PKT1_PKS1_PKT0_21rocsparse_index_base_b20rocsparse_diag_type_S4_PS1_PS7_SA_ ; -- Begin function _ZN9rocsparseL28internal_extract_fill_kernelILj1024EfiiEEvT2_PKT1_PKS1_PKT0_21rocsparse_index_base_b20rocsparse_diag_type_S4_PS1_PS7_SA_
	.p2align	8
	.type	_ZN9rocsparseL28internal_extract_fill_kernelILj1024EfiiEEvT2_PKT1_PKS1_PKT0_21rocsparse_index_base_b20rocsparse_diag_type_S4_PS1_PS7_SA_,@function
_ZN9rocsparseL28internal_extract_fill_kernelILj1024EfiiEEvT2_PKT1_PKS1_PKT0_21rocsparse_index_base_b20rocsparse_diag_type_S4_PS1_PS7_SA_: ; @_ZN9rocsparseL28internal_extract_fill_kernelILj1024EfiiEEvT2_PKT1_PKS1_PKT0_21rocsparse_index_base_b20rocsparse_diag_type_S4_PS1_PS7_SA_
; %bb.0:
	s_clause 0x1
	s_load_b32 s2, s[0:1], 0x5c
	s_load_b32 s3, s[0:1], 0x0
	s_bfe_u32 s4, ttmp6, 0x4000c
	s_and_b32 s5, ttmp6, 15
	s_add_co_i32 s4, s4, 1
	s_getreg_b32 s6, hwreg(HW_REG_IB_STS2, 6, 4)
	s_mul_i32 s4, ttmp9, s4
	s_delay_alu instid0(SALU_CYCLE_1) | instskip(SKIP_4) | instid1(SALU_CYCLE_1)
	s_add_co_i32 s5, s5, s4
	s_wait_kmcnt 0x0
	s_and_b32 s2, s2, 0xffff
	s_cmp_eq_u32 s6, 0
	s_cselect_b32 s4, ttmp9, s5
	v_mad_u32 v0, s4, s2, v0
	s_mov_b32 s2, exec_lo
	s_delay_alu instid0(VALU_DEP_1)
	v_cmpx_gt_i32_e64 s3, v0
	s_cbranch_execz .LBB16_17
; %bb.1:
	s_load_b64 s[2:3], s[0:1], 0x8
	v_ashrrev_i32_e32 v1, 31, v0
	s_wait_kmcnt 0x0
	s_delay_alu instid0(VALU_DEP_1)
	v_lshl_add_u64 v[2:3], v[0:1], 2, s[2:3]
	global_load_b64 v[4:5], v[2:3], off
	s_wait_loadcnt 0x0
	v_cmp_lt_i32_e32 vcc_lo, v4, v5
	s_and_b32 exec_lo, exec_lo, vcc_lo
	s_cbranch_execz .LBB16_17
; %bb.2:
	s_load_b128 s[4:7], s[0:1], 0x30
	s_mov_b32 s2, 0
	s_wait_kmcnt 0x0
	v_lshl_add_u64 v[2:3], v[0:1], 2, s[4:5]
	global_load_b32 v8, v[2:3], off
	s_clause 0x2
	s_load_b96 s[8:10], s[0:1], 0x20
	s_load_b128 s[16:19], s[0:1], 0x10
	s_load_b96 s[12:14], s[0:1], 0x40
	s_wait_kmcnt 0x0
	v_subrev_nc_u32_e32 v2, s8, v4
	s_bitcmp1_b32 s9, 0
	v_subrev_nc_u32_e32 v1, s8, v5
	s_cselect_b32 s0, -1, 0
	s_delay_alu instid0(VALU_DEP_2) | instskip(SKIP_3) | instid1(VALU_DEP_1)
	v_ashrrev_i32_e32 v3, 31, v2
	s_xor_b32 s0, s0, -1
	s_cmp_lg_u32 s10, 1
	s_cselect_b32 s1, -1, 0
	v_lshlrev_b64_e32 v[6:7], 2, v[2:3]
	s_delay_alu instid0(VALU_DEP_1)
	v_add_nc_u64_e32 v[4:5], s[16:17], v[6:7]
	v_add_nc_u64_e32 v[6:7], s[18:19], v[6:7]
	s_wait_loadcnt 0x0
	v_subrev_nc_u32_e32 v3, s14, v8
	s_branch .LBB16_4
.LBB16_3:                               ;   in Loop: Header=BB16_4 Depth=1
	s_or_b32 exec_lo, exec_lo, s4
	v_add_nc_u32_e32 v2, 1, v2
	v_add_nc_u64_e32 v[4:5], 4, v[4:5]
	v_add_nc_u64_e32 v[6:7], 4, v[6:7]
	s_delay_alu instid0(VALU_DEP_3) | instskip(SKIP_1) | instid1(SALU_CYCLE_1)
	v_cmp_ge_i32_e32 vcc_lo, v2, v1
	s_or_b32 s2, vcc_lo, s2
	s_and_not1_b32 exec_lo, exec_lo, s2
	s_cbranch_execz .LBB16_17
.LBB16_4:                               ; =>This Inner Loop Header: Depth=1
	global_load_b32 v8, v[4:5], off
	s_and_b32 vcc_lo, exec_lo, s0
	s_mov_b32 s4, -1
                                        ; implicit-def: $sgpr3
	s_wait_loadcnt 0x0
	v_subrev_nc_u32_e32 v8, s8, v8
	s_cbranch_vccz .LBB16_10
; %bb.5:                                ;   in Loop: Header=BB16_4 Depth=1
	s_and_b32 vcc_lo, exec_lo, s1
                                        ; implicit-def: $sgpr3
	s_cbranch_vccz .LBB16_7
; %bb.6:                                ;   in Loop: Header=BB16_4 Depth=1
	s_delay_alu instid0(VALU_DEP_1)
	v_cmp_le_i32_e64 s3, v0, v8
	s_mov_b32 s4, 0
.LBB16_7:                               ;   in Loop: Header=BB16_4 Depth=1
	s_delay_alu instid0(SALU_CYCLE_1)
	s_and_not1_b32 vcc_lo, exec_lo, s4
	s_cbranch_vccnz .LBB16_9
; %bb.8:                                ;   in Loop: Header=BB16_4 Depth=1
	v_cmp_lt_i32_e32 vcc_lo, v0, v8
	s_and_not1_b32 s3, s3, exec_lo
	s_and_b32 s4, vcc_lo, exec_lo
	s_delay_alu instid0(SALU_CYCLE_1)
	s_or_b32 s3, s3, s4
.LBB16_9:                               ;   in Loop: Header=BB16_4 Depth=1
	s_mov_b32 s4, 0
.LBB16_10:                              ;   in Loop: Header=BB16_4 Depth=1
	s_delay_alu instid0(SALU_CYCLE_1)
	s_and_not1_b32 vcc_lo, exec_lo, s4
	s_cbranch_vccnz .LBB16_15
; %bb.11:                               ;   in Loop: Header=BB16_4 Depth=1
	s_and_b32 vcc_lo, exec_lo, s1
	s_mov_b32 s4, -1
                                        ; implicit-def: $sgpr3
	s_cbranch_vccz .LBB16_13
; %bb.12:                               ;   in Loop: Header=BB16_4 Depth=1
	v_cmp_ge_i32_e64 s3, v0, v8
	s_mov_b32 s4, 0
.LBB16_13:                              ;   in Loop: Header=BB16_4 Depth=1
	s_delay_alu instid0(SALU_CYCLE_1)
	s_and_not1_b32 vcc_lo, exec_lo, s4
	s_cbranch_vccnz .LBB16_15
; %bb.14:                               ;   in Loop: Header=BB16_4 Depth=1
	v_cmp_gt_i32_e32 vcc_lo, v0, v8
	s_and_not1_b32 s3, s3, exec_lo
	s_and_b32 s4, vcc_lo, exec_lo
	s_delay_alu instid0(SALU_CYCLE_1)
	s_or_b32 s3, s3, s4
.LBB16_15:                              ;   in Loop: Header=BB16_4 Depth=1
	s_wait_xcnt 0x0
	s_and_saveexec_b32 s4, s3
	s_cbranch_execz .LBB16_3
; %bb.16:                               ;   in Loop: Header=BB16_4 Depth=1
	global_load_b32 v9, v[6:7], off
	v_dual_add_nc_u32 v8, s14, v8 :: v_dual_add_nc_u32 v10, 1, v3
	global_store_b32 v3, v8, s[6:7] scale_offset
	s_wait_loadcnt 0x0
	global_store_b32 v3, v9, s[12:13] scale_offset
	s_wait_xcnt 0x0
	v_mov_b32_e32 v3, v10
	s_branch .LBB16_3
.LBB16_17:
	s_endpgm
	.section	.rodata,"a",@progbits
	.p2align	6, 0x0
	.amdhsa_kernel _ZN9rocsparseL28internal_extract_fill_kernelILj1024EfiiEEvT2_PKT1_PKS1_PKT0_21rocsparse_index_base_b20rocsparse_diag_type_S4_PS1_PS7_SA_
		.amdhsa_group_segment_fixed_size 0
		.amdhsa_private_segment_fixed_size 0
		.amdhsa_kernarg_size 336
		.amdhsa_user_sgpr_count 2
		.amdhsa_user_sgpr_dispatch_ptr 0
		.amdhsa_user_sgpr_queue_ptr 0
		.amdhsa_user_sgpr_kernarg_segment_ptr 1
		.amdhsa_user_sgpr_dispatch_id 0
		.amdhsa_user_sgpr_kernarg_preload_length 0
		.amdhsa_user_sgpr_kernarg_preload_offset 0
		.amdhsa_user_sgpr_private_segment_size 0
		.amdhsa_wavefront_size32 1
		.amdhsa_uses_dynamic_stack 0
		.amdhsa_enable_private_segment 0
		.amdhsa_system_sgpr_workgroup_id_x 1
		.amdhsa_system_sgpr_workgroup_id_y 0
		.amdhsa_system_sgpr_workgroup_id_z 0
		.amdhsa_system_sgpr_workgroup_info 0
		.amdhsa_system_vgpr_workitem_id 0
		.amdhsa_next_free_vgpr 11
		.amdhsa_next_free_sgpr 20
		.amdhsa_named_barrier_count 0
		.amdhsa_reserve_vcc 1
		.amdhsa_float_round_mode_32 0
		.amdhsa_float_round_mode_16_64 0
		.amdhsa_float_denorm_mode_32 3
		.amdhsa_float_denorm_mode_16_64 3
		.amdhsa_fp16_overflow 0
		.amdhsa_memory_ordered 1
		.amdhsa_forward_progress 1
		.amdhsa_inst_pref_size 5
		.amdhsa_round_robin_scheduling 0
		.amdhsa_exception_fp_ieee_invalid_op 0
		.amdhsa_exception_fp_denorm_src 0
		.amdhsa_exception_fp_ieee_div_zero 0
		.amdhsa_exception_fp_ieee_overflow 0
		.amdhsa_exception_fp_ieee_underflow 0
		.amdhsa_exception_fp_ieee_inexact 0
		.amdhsa_exception_int_div_zero 0
	.end_amdhsa_kernel
	.section	.text._ZN9rocsparseL28internal_extract_fill_kernelILj1024EfiiEEvT2_PKT1_PKS1_PKT0_21rocsparse_index_base_b20rocsparse_diag_type_S4_PS1_PS7_SA_,"axG",@progbits,_ZN9rocsparseL28internal_extract_fill_kernelILj1024EfiiEEvT2_PKT1_PKS1_PKT0_21rocsparse_index_base_b20rocsparse_diag_type_S4_PS1_PS7_SA_,comdat
.Lfunc_end16:
	.size	_ZN9rocsparseL28internal_extract_fill_kernelILj1024EfiiEEvT2_PKT1_PKS1_PKT0_21rocsparse_index_base_b20rocsparse_diag_type_S4_PS1_PS7_SA_, .Lfunc_end16-_ZN9rocsparseL28internal_extract_fill_kernelILj1024EfiiEEvT2_PKT1_PKS1_PKT0_21rocsparse_index_base_b20rocsparse_diag_type_S4_PS1_PS7_SA_
                                        ; -- End function
	.set _ZN9rocsparseL28internal_extract_fill_kernelILj1024EfiiEEvT2_PKT1_PKS1_PKT0_21rocsparse_index_base_b20rocsparse_diag_type_S4_PS1_PS7_SA_.num_vgpr, 11
	.set _ZN9rocsparseL28internal_extract_fill_kernelILj1024EfiiEEvT2_PKT1_PKS1_PKT0_21rocsparse_index_base_b20rocsparse_diag_type_S4_PS1_PS7_SA_.num_agpr, 0
	.set _ZN9rocsparseL28internal_extract_fill_kernelILj1024EfiiEEvT2_PKT1_PKS1_PKT0_21rocsparse_index_base_b20rocsparse_diag_type_S4_PS1_PS7_SA_.numbered_sgpr, 20
	.set _ZN9rocsparseL28internal_extract_fill_kernelILj1024EfiiEEvT2_PKT1_PKS1_PKT0_21rocsparse_index_base_b20rocsparse_diag_type_S4_PS1_PS7_SA_.num_named_barrier, 0
	.set _ZN9rocsparseL28internal_extract_fill_kernelILj1024EfiiEEvT2_PKT1_PKS1_PKT0_21rocsparse_index_base_b20rocsparse_diag_type_S4_PS1_PS7_SA_.private_seg_size, 0
	.set _ZN9rocsparseL28internal_extract_fill_kernelILj1024EfiiEEvT2_PKT1_PKS1_PKT0_21rocsparse_index_base_b20rocsparse_diag_type_S4_PS1_PS7_SA_.uses_vcc, 1
	.set _ZN9rocsparseL28internal_extract_fill_kernelILj1024EfiiEEvT2_PKT1_PKS1_PKT0_21rocsparse_index_base_b20rocsparse_diag_type_S4_PS1_PS7_SA_.uses_flat_scratch, 0
	.set _ZN9rocsparseL28internal_extract_fill_kernelILj1024EfiiEEvT2_PKT1_PKS1_PKT0_21rocsparse_index_base_b20rocsparse_diag_type_S4_PS1_PS7_SA_.has_dyn_sized_stack, 0
	.set _ZN9rocsparseL28internal_extract_fill_kernelILj1024EfiiEEvT2_PKT1_PKS1_PKT0_21rocsparse_index_base_b20rocsparse_diag_type_S4_PS1_PS7_SA_.has_recursion, 0
	.set _ZN9rocsparseL28internal_extract_fill_kernelILj1024EfiiEEvT2_PKT1_PKS1_PKT0_21rocsparse_index_base_b20rocsparse_diag_type_S4_PS1_PS7_SA_.has_indirect_call, 0
	.section	.AMDGPU.csdata,"",@progbits
; Kernel info:
; codeLenInByte = 564
; TotalNumSgprs: 22
; NumVgprs: 11
; ScratchSize: 0
; MemoryBound: 0
; FloatMode: 240
; IeeeMode: 1
; LDSByteSize: 0 bytes/workgroup (compile time only)
; SGPRBlocks: 0
; VGPRBlocks: 0
; NumSGPRsForWavesPerEU: 22
; NumVGPRsForWavesPerEU: 11
; NamedBarCnt: 0
; Occupancy: 16
; WaveLimiterHint : 0
; COMPUTE_PGM_RSRC2:SCRATCH_EN: 0
; COMPUTE_PGM_RSRC2:USER_SGPR: 2
; COMPUTE_PGM_RSRC2:TRAP_HANDLER: 0
; COMPUTE_PGM_RSRC2:TGID_X_EN: 1
; COMPUTE_PGM_RSRC2:TGID_Y_EN: 0
; COMPUTE_PGM_RSRC2:TGID_Z_EN: 0
; COMPUTE_PGM_RSRC2:TIDIG_COMP_CNT: 0
	.section	.text._ZN9rocsparseL28internal_extract_fill_kernelILj1024EfilEEvT2_PKT1_PKS1_PKT0_21rocsparse_index_base_b20rocsparse_diag_type_S4_PS1_PS7_SA_,"axG",@progbits,_ZN9rocsparseL28internal_extract_fill_kernelILj1024EfilEEvT2_PKT1_PKS1_PKT0_21rocsparse_index_base_b20rocsparse_diag_type_S4_PS1_PS7_SA_,comdat
	.globl	_ZN9rocsparseL28internal_extract_fill_kernelILj1024EfilEEvT2_PKT1_PKS1_PKT0_21rocsparse_index_base_b20rocsparse_diag_type_S4_PS1_PS7_SA_ ; -- Begin function _ZN9rocsparseL28internal_extract_fill_kernelILj1024EfilEEvT2_PKT1_PKS1_PKT0_21rocsparse_index_base_b20rocsparse_diag_type_S4_PS1_PS7_SA_
	.p2align	8
	.type	_ZN9rocsparseL28internal_extract_fill_kernelILj1024EfilEEvT2_PKT1_PKS1_PKT0_21rocsparse_index_base_b20rocsparse_diag_type_S4_PS1_PS7_SA_,@function
_ZN9rocsparseL28internal_extract_fill_kernelILj1024EfilEEvT2_PKT1_PKS1_PKT0_21rocsparse_index_base_b20rocsparse_diag_type_S4_PS1_PS7_SA_: ; @_ZN9rocsparseL28internal_extract_fill_kernelILj1024EfilEEvT2_PKT1_PKS1_PKT0_21rocsparse_index_base_b20rocsparse_diag_type_S4_PS1_PS7_SA_
; %bb.0:
	s_clause 0x1
	s_load_b32 s4, s[0:1], 0x5c
	s_load_b64 s[2:3], s[0:1], 0x0
	s_bfe_u32 s5, ttmp6, 0x4000c
	s_and_b32 s6, ttmp6, 15
	s_add_co_i32 s5, s5, 1
	s_getreg_b32 s7, hwreg(HW_REG_IB_STS2, 6, 4)
	s_mul_i32 s5, ttmp9, s5
	s_delay_alu instid0(SALU_CYCLE_1) | instskip(SKIP_4) | instid1(SALU_CYCLE_1)
	s_add_co_i32 s6, s6, s5
	s_wait_kmcnt 0x0
	s_and_b32 s4, s4, 0xffff
	s_cmp_eq_u32 s7, 0
	s_cselect_b32 s5, ttmp9, s6
	v_mad_u32 v0, s5, s4, v0
	s_delay_alu instid0(VALU_DEP_1) | instskip(NEXT) | instid1(VALU_DEP_1)
	v_ashrrev_i32_e32 v1, 31, v0
	v_cmp_gt_i64_e32 vcc_lo, s[2:3], v[0:1]
	s_and_saveexec_b32 s2, vcc_lo
	s_cbranch_execz .LBB17_17
; %bb.1:
	s_load_b64 s[2:3], s[0:1], 0x8
	s_wait_kmcnt 0x0
	v_lshl_add_u64 v[2:3], v[0:1], 2, s[2:3]
	global_load_b64 v[2:3], v[2:3], off
	s_wait_loadcnt 0x0
	v_cmp_lt_i32_e32 vcc_lo, v2, v3
	s_and_b32 exec_lo, exec_lo, vcc_lo
	s_cbranch_execz .LBB17_17
; %bb.2:
	s_load_b128 s[4:7], s[0:1], 0x30
	s_wait_kmcnt 0x0
	v_lshl_add_u64 v[4:5], v[0:1], 2, s[4:5]
	global_load_b32 v6, v[4:5], off
	s_clause 0x2
	s_load_b96 s[8:10], s[0:1], 0x20
	s_load_b96 s[12:14], s[0:1], 0x40
	s_load_b128 s[16:19], s[0:1], 0x10
	s_wait_xcnt 0x0
	s_mov_b32 s1, 0
	s_delay_alu instid0(SALU_CYCLE_1)
	s_mov_b32 s4, s1
	s_wait_kmcnt 0x0
	v_subrev_nc_u32_e32 v2, s8, v2
	v_subrev_nc_u32_e32 v10, s8, v3
	s_bitcmp1_b32 s9, 0
	s_mov_b32 s0, s14
	s_cselect_b32 s2, -1, 0
	v_ashrrev_i32_e32 v3, 31, v2
	s_xor_b32 s2, s2, -1
	s_cmp_lg_u32 s10, 1
	s_mov_b32 s9, s1
	s_cselect_b32 s3, -1, 0
	v_lshl_add_u64 v[4:5], v[2:3], 3, s[16:17]
	s_wait_loadcnt 0x0
	v_subrev_nc_u32_e32 v11, s14, v6
	v_lshl_add_u64 v[6:7], v[2:3], 2, s[18:19]
	s_branch .LBB17_4
.LBB17_3:                               ;   in Loop: Header=BB17_4 Depth=1
	s_or_b32 exec_lo, exec_lo, s10
	v_add_nc_u32_e32 v2, 1, v2
	v_add_nc_u64_e32 v[4:5], 8, v[4:5]
	v_add_nc_u64_e32 v[6:7], 4, v[6:7]
	s_delay_alu instid0(VALU_DEP_3) | instskip(SKIP_1) | instid1(SALU_CYCLE_1)
	v_cmp_ge_i32_e32 vcc_lo, v2, v10
	s_or_b32 s4, vcc_lo, s4
	s_and_not1_b32 exec_lo, exec_lo, s4
	s_cbranch_execz .LBB17_17
.LBB17_4:                               ; =>This Inner Loop Header: Depth=1
	global_load_b64 v[8:9], v[4:5], off
	s_and_b32 vcc_lo, exec_lo, s2
	s_mov_b32 s10, -1
                                        ; implicit-def: $sgpr5
	s_wait_loadcnt 0x0
	v_sub_nc_u64_e64 v[8:9], v[8:9], s[8:9]
	s_cbranch_vccz .LBB17_10
; %bb.5:                                ;   in Loop: Header=BB17_4 Depth=1
	s_and_b32 vcc_lo, exec_lo, s3
                                        ; implicit-def: $sgpr5
	s_cbranch_vccz .LBB17_7
; %bb.6:                                ;   in Loop: Header=BB17_4 Depth=1
	s_delay_alu instid0(VALU_DEP_1)
	v_cmp_ge_i64_e64 s5, v[8:9], v[0:1]
	s_mov_b32 s10, 0
.LBB17_7:                               ;   in Loop: Header=BB17_4 Depth=1
	s_delay_alu instid0(SALU_CYCLE_1)
	s_and_not1_b32 vcc_lo, exec_lo, s10
	s_cbranch_vccnz .LBB17_9
; %bb.8:                                ;   in Loop: Header=BB17_4 Depth=1
	s_delay_alu instid0(VALU_DEP_1) | instskip(SKIP_2) | instid1(SALU_CYCLE_1)
	v_cmp_gt_i64_e32 vcc_lo, v[8:9], v[0:1]
	s_and_not1_b32 s5, s5, exec_lo
	s_and_b32 s10, vcc_lo, exec_lo
	s_or_b32 s5, s5, s10
.LBB17_9:                               ;   in Loop: Header=BB17_4 Depth=1
	s_mov_b32 s10, 0
.LBB17_10:                              ;   in Loop: Header=BB17_4 Depth=1
	s_delay_alu instid0(SALU_CYCLE_1)
	s_and_not1_b32 vcc_lo, exec_lo, s10
	s_cbranch_vccnz .LBB17_15
; %bb.11:                               ;   in Loop: Header=BB17_4 Depth=1
	s_and_b32 vcc_lo, exec_lo, s3
	s_mov_b32 s10, -1
                                        ; implicit-def: $sgpr5
	s_cbranch_vccz .LBB17_13
; %bb.12:                               ;   in Loop: Header=BB17_4 Depth=1
	v_cmp_le_i64_e64 s5, v[8:9], v[0:1]
	s_mov_b32 s10, 0
.LBB17_13:                              ;   in Loop: Header=BB17_4 Depth=1
	s_delay_alu instid0(SALU_CYCLE_1)
	s_and_not1_b32 vcc_lo, exec_lo, s10
	s_cbranch_vccnz .LBB17_15
; %bb.14:                               ;   in Loop: Header=BB17_4 Depth=1
	v_cmp_lt_i64_e32 vcc_lo, v[8:9], v[0:1]
	s_and_not1_b32 s5, s5, exec_lo
	s_and_b32 s10, vcc_lo, exec_lo
	s_delay_alu instid0(SALU_CYCLE_1)
	s_or_b32 s5, s5, s10
.LBB17_15:                              ;   in Loop: Header=BB17_4 Depth=1
	s_wait_xcnt 0x0
	s_and_saveexec_b32 s10, s5
	s_cbranch_execz .LBB17_3
; %bb.16:                               ;   in Loop: Header=BB17_4 Depth=1
	global_load_b32 v3, v[6:7], off
	v_add_nc_u64_e32 v[8:9], s[0:1], v[8:9]
	v_add_nc_u32_e32 v12, 1, v11
	global_store_b64 v11, v[8:9], s[6:7] scale_offset
	s_wait_loadcnt 0x0
	global_store_b32 v11, v3, s[12:13] scale_offset
	s_wait_xcnt 0x0
	v_mov_b32_e32 v11, v12
	s_branch .LBB17_3
.LBB17_17:
	s_endpgm
	.section	.rodata,"a",@progbits
	.p2align	6, 0x0
	.amdhsa_kernel _ZN9rocsparseL28internal_extract_fill_kernelILj1024EfilEEvT2_PKT1_PKS1_PKT0_21rocsparse_index_base_b20rocsparse_diag_type_S4_PS1_PS7_SA_
		.amdhsa_group_segment_fixed_size 0
		.amdhsa_private_segment_fixed_size 0
		.amdhsa_kernarg_size 336
		.amdhsa_user_sgpr_count 2
		.amdhsa_user_sgpr_dispatch_ptr 0
		.amdhsa_user_sgpr_queue_ptr 0
		.amdhsa_user_sgpr_kernarg_segment_ptr 1
		.amdhsa_user_sgpr_dispatch_id 0
		.amdhsa_user_sgpr_kernarg_preload_length 0
		.amdhsa_user_sgpr_kernarg_preload_offset 0
		.amdhsa_user_sgpr_private_segment_size 0
		.amdhsa_wavefront_size32 1
		.amdhsa_uses_dynamic_stack 0
		.amdhsa_enable_private_segment 0
		.amdhsa_system_sgpr_workgroup_id_x 1
		.amdhsa_system_sgpr_workgroup_id_y 0
		.amdhsa_system_sgpr_workgroup_id_z 0
		.amdhsa_system_sgpr_workgroup_info 0
		.amdhsa_system_vgpr_workitem_id 0
		.amdhsa_next_free_vgpr 13
		.amdhsa_next_free_sgpr 20
		.amdhsa_named_barrier_count 0
		.amdhsa_reserve_vcc 1
		.amdhsa_float_round_mode_32 0
		.amdhsa_float_round_mode_16_64 0
		.amdhsa_float_denorm_mode_32 3
		.amdhsa_float_denorm_mode_16_64 3
		.amdhsa_fp16_overflow 0
		.amdhsa_memory_ordered 1
		.amdhsa_forward_progress 1
		.amdhsa_inst_pref_size 5
		.amdhsa_round_robin_scheduling 0
		.amdhsa_exception_fp_ieee_invalid_op 0
		.amdhsa_exception_fp_denorm_src 0
		.amdhsa_exception_fp_ieee_div_zero 0
		.amdhsa_exception_fp_ieee_overflow 0
		.amdhsa_exception_fp_ieee_underflow 0
		.amdhsa_exception_fp_ieee_inexact 0
		.amdhsa_exception_int_div_zero 0
	.end_amdhsa_kernel
	.section	.text._ZN9rocsparseL28internal_extract_fill_kernelILj1024EfilEEvT2_PKT1_PKS1_PKT0_21rocsparse_index_base_b20rocsparse_diag_type_S4_PS1_PS7_SA_,"axG",@progbits,_ZN9rocsparseL28internal_extract_fill_kernelILj1024EfilEEvT2_PKT1_PKS1_PKT0_21rocsparse_index_base_b20rocsparse_diag_type_S4_PS1_PS7_SA_,comdat
.Lfunc_end17:
	.size	_ZN9rocsparseL28internal_extract_fill_kernelILj1024EfilEEvT2_PKT1_PKS1_PKT0_21rocsparse_index_base_b20rocsparse_diag_type_S4_PS1_PS7_SA_, .Lfunc_end17-_ZN9rocsparseL28internal_extract_fill_kernelILj1024EfilEEvT2_PKT1_PKS1_PKT0_21rocsparse_index_base_b20rocsparse_diag_type_S4_PS1_PS7_SA_
                                        ; -- End function
	.set _ZN9rocsparseL28internal_extract_fill_kernelILj1024EfilEEvT2_PKT1_PKS1_PKT0_21rocsparse_index_base_b20rocsparse_diag_type_S4_PS1_PS7_SA_.num_vgpr, 13
	.set _ZN9rocsparseL28internal_extract_fill_kernelILj1024EfilEEvT2_PKT1_PKS1_PKT0_21rocsparse_index_base_b20rocsparse_diag_type_S4_PS1_PS7_SA_.num_agpr, 0
	.set _ZN9rocsparseL28internal_extract_fill_kernelILj1024EfilEEvT2_PKT1_PKS1_PKT0_21rocsparse_index_base_b20rocsparse_diag_type_S4_PS1_PS7_SA_.numbered_sgpr, 20
	.set _ZN9rocsparseL28internal_extract_fill_kernelILj1024EfilEEvT2_PKT1_PKS1_PKT0_21rocsparse_index_base_b20rocsparse_diag_type_S4_PS1_PS7_SA_.num_named_barrier, 0
	.set _ZN9rocsparseL28internal_extract_fill_kernelILj1024EfilEEvT2_PKT1_PKS1_PKT0_21rocsparse_index_base_b20rocsparse_diag_type_S4_PS1_PS7_SA_.private_seg_size, 0
	.set _ZN9rocsparseL28internal_extract_fill_kernelILj1024EfilEEvT2_PKT1_PKS1_PKT0_21rocsparse_index_base_b20rocsparse_diag_type_S4_PS1_PS7_SA_.uses_vcc, 1
	.set _ZN9rocsparseL28internal_extract_fill_kernelILj1024EfilEEvT2_PKT1_PKS1_PKT0_21rocsparse_index_base_b20rocsparse_diag_type_S4_PS1_PS7_SA_.uses_flat_scratch, 0
	.set _ZN9rocsparseL28internal_extract_fill_kernelILj1024EfilEEvT2_PKT1_PKS1_PKT0_21rocsparse_index_base_b20rocsparse_diag_type_S4_PS1_PS7_SA_.has_dyn_sized_stack, 0
	.set _ZN9rocsparseL28internal_extract_fill_kernelILj1024EfilEEvT2_PKT1_PKS1_PKT0_21rocsparse_index_base_b20rocsparse_diag_type_S4_PS1_PS7_SA_.has_recursion, 0
	.set _ZN9rocsparseL28internal_extract_fill_kernelILj1024EfilEEvT2_PKT1_PKS1_PKT0_21rocsparse_index_base_b20rocsparse_diag_type_S4_PS1_PS7_SA_.has_indirect_call, 0
	.section	.AMDGPU.csdata,"",@progbits
; Kernel info:
; codeLenInByte = 572
; TotalNumSgprs: 22
; NumVgprs: 13
; ScratchSize: 0
; MemoryBound: 0
; FloatMode: 240
; IeeeMode: 1
; LDSByteSize: 0 bytes/workgroup (compile time only)
; SGPRBlocks: 0
; VGPRBlocks: 0
; NumSGPRsForWavesPerEU: 22
; NumVGPRsForWavesPerEU: 13
; NamedBarCnt: 0
; Occupancy: 16
; WaveLimiterHint : 0
; COMPUTE_PGM_RSRC2:SCRATCH_EN: 0
; COMPUTE_PGM_RSRC2:USER_SGPR: 2
; COMPUTE_PGM_RSRC2:TRAP_HANDLER: 0
; COMPUTE_PGM_RSRC2:TGID_X_EN: 1
; COMPUTE_PGM_RSRC2:TGID_Y_EN: 0
; COMPUTE_PGM_RSRC2:TGID_Z_EN: 0
; COMPUTE_PGM_RSRC2:TIDIG_COMP_CNT: 0
	.section	.text._ZN9rocsparseL28internal_extract_fill_kernelILj1024EfliEEvT2_PKT1_PKS1_PKT0_21rocsparse_index_base_b20rocsparse_diag_type_S4_PS1_PS7_SA_,"axG",@progbits,_ZN9rocsparseL28internal_extract_fill_kernelILj1024EfliEEvT2_PKT1_PKS1_PKT0_21rocsparse_index_base_b20rocsparse_diag_type_S4_PS1_PS7_SA_,comdat
	.globl	_ZN9rocsparseL28internal_extract_fill_kernelILj1024EfliEEvT2_PKT1_PKS1_PKT0_21rocsparse_index_base_b20rocsparse_diag_type_S4_PS1_PS7_SA_ ; -- Begin function _ZN9rocsparseL28internal_extract_fill_kernelILj1024EfliEEvT2_PKT1_PKS1_PKT0_21rocsparse_index_base_b20rocsparse_diag_type_S4_PS1_PS7_SA_
	.p2align	8
	.type	_ZN9rocsparseL28internal_extract_fill_kernelILj1024EfliEEvT2_PKT1_PKS1_PKT0_21rocsparse_index_base_b20rocsparse_diag_type_S4_PS1_PS7_SA_,@function
_ZN9rocsparseL28internal_extract_fill_kernelILj1024EfliEEvT2_PKT1_PKS1_PKT0_21rocsparse_index_base_b20rocsparse_diag_type_S4_PS1_PS7_SA_: ; @_ZN9rocsparseL28internal_extract_fill_kernelILj1024EfliEEvT2_PKT1_PKS1_PKT0_21rocsparse_index_base_b20rocsparse_diag_type_S4_PS1_PS7_SA_
; %bb.0:
	s_clause 0x1
	s_load_b32 s2, s[0:1], 0x0
	s_load_b32 s4, s[0:1], 0x5c
	s_bfe_u32 s3, ttmp6, 0x4000c
	s_and_b32 s5, ttmp6, 15
	s_add_co_i32 s3, s3, 1
	s_getreg_b32 s6, hwreg(HW_REG_IB_STS2, 6, 4)
	s_mul_i32 s7, ttmp9, s3
	v_mov_b32_e32 v5, 0
	s_add_co_i32 s5, s5, s7
	s_wait_kmcnt 0x0
	s_ashr_i32 s3, s2, 31
	s_and_b32 s4, s4, 0xffff
	s_cmp_eq_u32 s6, 0
	s_cselect_b32 s5, ttmp9, s5
	s_delay_alu instid0(SALU_CYCLE_1) | instskip(NEXT) | instid1(VALU_DEP_1)
	v_mad_u32 v4, s5, s4, v0
	v_cmp_gt_i64_e32 vcc_lo, s[2:3], v[4:5]
	s_and_saveexec_b32 s2, vcc_lo
	s_cbranch_execz .LBB18_17
; %bb.1:
	s_load_b64 s[2:3], s[0:1], 0x8
	s_wait_kmcnt 0x0
	v_lshl_add_u64 v[0:1], v[4:5], 3, s[2:3]
	global_load_b128 v[0:3], v[0:1], off
	s_wait_loadcnt 0x0
	v_cmp_lt_i64_e32 vcc_lo, v[0:1], v[2:3]
	s_and_b32 exec_lo, exec_lo, vcc_lo
	s_cbranch_execz .LBB18_17
; %bb.2:
	s_load_b128 s[4:7], s[0:1], 0x30
	s_wait_kmcnt 0x0
	v_lshl_add_u64 v[6:7], v[4:5], 3, s[4:5]
	global_load_b64 v[8:9], v[6:7], off
	s_clause 0x2
	s_load_b96 s[8:10], s[0:1], 0x20
	s_load_b96 s[12:14], s[0:1], 0x40
	s_load_b128 s[16:19], s[0:1], 0x10
	v_lshlrev_b64_e32 v[6:7], 2, v[0:1]
	s_wait_xcnt 0x0
	s_mov_b32 s1, 0
	s_wait_kmcnt 0x0
	s_bitcmp1_b32 s9, 0
	s_cselect_b32 s0, -1, 0
	s_delay_alu instid0(SALU_CYCLE_1)
	s_xor_b32 s2, s0, -1
	s_cmp_lg_u32 s10, 1
	s_mov_b32 s0, s8
	s_cselect_b32 s3, -1, 0
	s_lshl_b64 s[4:5], s[0:1], 2
	v_sub_nc_u64_e64 v[2:3], v[2:3], s[0:1]
	v_sub_nc_u64_e64 v[12:13], v[6:7], s[4:5]
	s_mov_b32 s5, s1
	s_mov_b32 s4, s14
	v_sub_nc_u64_e64 v[0:1], v[0:1], s[0:1]
	s_delay_alu instid0(VALU_DEP_2)
	v_add_nc_u64_e32 v[6:7], s[18:19], v[12:13]
	s_wait_loadcnt 0x0
	v_sub_nc_u64_e64 v[10:11], v[8:9], s[4:5]
	v_add_nc_u64_e32 v[8:9], s[16:17], v[12:13]
	s_branch .LBB18_4
.LBB18_3:                               ;   in Loop: Header=BB18_4 Depth=1
	s_wait_xcnt 0x0
	s_or_b32 exec_lo, exec_lo, s4
	v_add_nc_u64_e32 v[0:1], 1, v[0:1]
	v_add_nc_u64_e32 v[6:7], 4, v[6:7]
	;; [unrolled: 1-line block ×3, first 2 shown]
	s_delay_alu instid0(VALU_DEP_3) | instskip(SKIP_1) | instid1(SALU_CYCLE_1)
	v_cmp_ge_i64_e32 vcc_lo, v[0:1], v[2:3]
	s_or_b32 s1, vcc_lo, s1
	s_and_not1_b32 exec_lo, exec_lo, s1
	s_cbranch_execz .LBB18_17
.LBB18_4:                               ; =>This Inner Loop Header: Depth=1
	global_load_b32 v5, v[8:9], off
	s_and_b32 vcc_lo, exec_lo, s2
	s_mov_b32 s4, -1
                                        ; implicit-def: $sgpr0
	s_wait_loadcnt 0x0
	v_subrev_nc_u32_e32 v5, s8, v5
	s_cbranch_vccz .LBB18_10
; %bb.5:                                ;   in Loop: Header=BB18_4 Depth=1
	s_and_b32 vcc_lo, exec_lo, s3
                                        ; implicit-def: $sgpr0
	s_cbranch_vccz .LBB18_7
; %bb.6:                                ;   in Loop: Header=BB18_4 Depth=1
	s_delay_alu instid0(VALU_DEP_1)
	v_cmp_le_i32_e64 s0, v4, v5
	s_mov_b32 s4, 0
.LBB18_7:                               ;   in Loop: Header=BB18_4 Depth=1
	s_delay_alu instid0(SALU_CYCLE_1)
	s_and_not1_b32 vcc_lo, exec_lo, s4
	s_cbranch_vccnz .LBB18_9
; %bb.8:                                ;   in Loop: Header=BB18_4 Depth=1
	v_cmp_lt_i32_e32 vcc_lo, v4, v5
	s_and_not1_b32 s0, s0, exec_lo
	s_and_b32 s4, vcc_lo, exec_lo
	s_delay_alu instid0(SALU_CYCLE_1)
	s_or_b32 s0, s0, s4
.LBB18_9:                               ;   in Loop: Header=BB18_4 Depth=1
	s_mov_b32 s4, 0
.LBB18_10:                              ;   in Loop: Header=BB18_4 Depth=1
	s_delay_alu instid0(SALU_CYCLE_1)
	s_and_not1_b32 vcc_lo, exec_lo, s4
	s_cbranch_vccnz .LBB18_15
; %bb.11:                               ;   in Loop: Header=BB18_4 Depth=1
	s_and_b32 vcc_lo, exec_lo, s3
	s_mov_b32 s4, -1
                                        ; implicit-def: $sgpr0
	s_cbranch_vccz .LBB18_13
; %bb.12:                               ;   in Loop: Header=BB18_4 Depth=1
	v_cmp_ge_i32_e64 s0, v4, v5
	s_mov_b32 s4, 0
.LBB18_13:                              ;   in Loop: Header=BB18_4 Depth=1
	s_delay_alu instid0(SALU_CYCLE_1)
	s_and_not1_b32 vcc_lo, exec_lo, s4
	s_cbranch_vccnz .LBB18_15
; %bb.14:                               ;   in Loop: Header=BB18_4 Depth=1
	v_cmp_gt_i32_e32 vcc_lo, v4, v5
	s_and_not1_b32 s0, s0, exec_lo
	s_and_b32 s4, vcc_lo, exec_lo
	s_delay_alu instid0(SALU_CYCLE_1)
	s_or_b32 s0, s0, s4
.LBB18_15:                              ;   in Loop: Header=BB18_4 Depth=1
	s_wait_xcnt 0x0
	s_and_saveexec_b32 s4, s0
	s_cbranch_execz .LBB18_3
; %bb.16:                               ;   in Loop: Header=BB18_4 Depth=1
	global_load_b32 v16, v[6:7], off
	v_lshlrev_b64_e32 v[12:13], 2, v[10:11]
	v_add_nc_u64_e32 v[10:11], 1, v[10:11]
	v_add_nc_u32_e32 v5, s14, v5
	s_delay_alu instid0(VALU_DEP_3)
	v_add_nc_u64_e32 v[14:15], s[6:7], v[12:13]
	v_add_nc_u64_e32 v[12:13], s[12:13], v[12:13]
	global_store_b32 v[14:15], v5, off
	s_wait_loadcnt 0x0
	global_store_b32 v[12:13], v16, off
	s_branch .LBB18_3
.LBB18_17:
	s_endpgm
	.section	.rodata,"a",@progbits
	.p2align	6, 0x0
	.amdhsa_kernel _ZN9rocsparseL28internal_extract_fill_kernelILj1024EfliEEvT2_PKT1_PKS1_PKT0_21rocsparse_index_base_b20rocsparse_diag_type_S4_PS1_PS7_SA_
		.amdhsa_group_segment_fixed_size 0
		.amdhsa_private_segment_fixed_size 0
		.amdhsa_kernarg_size 336
		.amdhsa_user_sgpr_count 2
		.amdhsa_user_sgpr_dispatch_ptr 0
		.amdhsa_user_sgpr_queue_ptr 0
		.amdhsa_user_sgpr_kernarg_segment_ptr 1
		.amdhsa_user_sgpr_dispatch_id 0
		.amdhsa_user_sgpr_kernarg_preload_length 0
		.amdhsa_user_sgpr_kernarg_preload_offset 0
		.amdhsa_user_sgpr_private_segment_size 0
		.amdhsa_wavefront_size32 1
		.amdhsa_uses_dynamic_stack 0
		.amdhsa_enable_private_segment 0
		.amdhsa_system_sgpr_workgroup_id_x 1
		.amdhsa_system_sgpr_workgroup_id_y 0
		.amdhsa_system_sgpr_workgroup_id_z 0
		.amdhsa_system_sgpr_workgroup_info 0
		.amdhsa_system_vgpr_workitem_id 0
		.amdhsa_next_free_vgpr 17
		.amdhsa_next_free_sgpr 20
		.amdhsa_named_barrier_count 0
		.amdhsa_reserve_vcc 1
		.amdhsa_float_round_mode_32 0
		.amdhsa_float_round_mode_16_64 0
		.amdhsa_float_denorm_mode_32 3
		.amdhsa_float_denorm_mode_16_64 3
		.amdhsa_fp16_overflow 0
		.amdhsa_memory_ordered 1
		.amdhsa_forward_progress 1
		.amdhsa_inst_pref_size 5
		.amdhsa_round_robin_scheduling 0
		.amdhsa_exception_fp_ieee_invalid_op 0
		.amdhsa_exception_fp_denorm_src 0
		.amdhsa_exception_fp_ieee_div_zero 0
		.amdhsa_exception_fp_ieee_overflow 0
		.amdhsa_exception_fp_ieee_underflow 0
		.amdhsa_exception_fp_ieee_inexact 0
		.amdhsa_exception_int_div_zero 0
	.end_amdhsa_kernel
	.section	.text._ZN9rocsparseL28internal_extract_fill_kernelILj1024EfliEEvT2_PKT1_PKS1_PKT0_21rocsparse_index_base_b20rocsparse_diag_type_S4_PS1_PS7_SA_,"axG",@progbits,_ZN9rocsparseL28internal_extract_fill_kernelILj1024EfliEEvT2_PKT1_PKS1_PKT0_21rocsparse_index_base_b20rocsparse_diag_type_S4_PS1_PS7_SA_,comdat
.Lfunc_end18:
	.size	_ZN9rocsparseL28internal_extract_fill_kernelILj1024EfliEEvT2_PKT1_PKS1_PKT0_21rocsparse_index_base_b20rocsparse_diag_type_S4_PS1_PS7_SA_, .Lfunc_end18-_ZN9rocsparseL28internal_extract_fill_kernelILj1024EfliEEvT2_PKT1_PKS1_PKT0_21rocsparse_index_base_b20rocsparse_diag_type_S4_PS1_PS7_SA_
                                        ; -- End function
	.set _ZN9rocsparseL28internal_extract_fill_kernelILj1024EfliEEvT2_PKT1_PKS1_PKT0_21rocsparse_index_base_b20rocsparse_diag_type_S4_PS1_PS7_SA_.num_vgpr, 17
	.set _ZN9rocsparseL28internal_extract_fill_kernelILj1024EfliEEvT2_PKT1_PKS1_PKT0_21rocsparse_index_base_b20rocsparse_diag_type_S4_PS1_PS7_SA_.num_agpr, 0
	.set _ZN9rocsparseL28internal_extract_fill_kernelILj1024EfliEEvT2_PKT1_PKS1_PKT0_21rocsparse_index_base_b20rocsparse_diag_type_S4_PS1_PS7_SA_.numbered_sgpr, 20
	.set _ZN9rocsparseL28internal_extract_fill_kernelILj1024EfliEEvT2_PKT1_PKS1_PKT0_21rocsparse_index_base_b20rocsparse_diag_type_S4_PS1_PS7_SA_.num_named_barrier, 0
	.set _ZN9rocsparseL28internal_extract_fill_kernelILj1024EfliEEvT2_PKT1_PKS1_PKT0_21rocsparse_index_base_b20rocsparse_diag_type_S4_PS1_PS7_SA_.private_seg_size, 0
	.set _ZN9rocsparseL28internal_extract_fill_kernelILj1024EfliEEvT2_PKT1_PKS1_PKT0_21rocsparse_index_base_b20rocsparse_diag_type_S4_PS1_PS7_SA_.uses_vcc, 1
	.set _ZN9rocsparseL28internal_extract_fill_kernelILj1024EfliEEvT2_PKT1_PKS1_PKT0_21rocsparse_index_base_b20rocsparse_diag_type_S4_PS1_PS7_SA_.uses_flat_scratch, 0
	.set _ZN9rocsparseL28internal_extract_fill_kernelILj1024EfliEEvT2_PKT1_PKS1_PKT0_21rocsparse_index_base_b20rocsparse_diag_type_S4_PS1_PS7_SA_.has_dyn_sized_stack, 0
	.set _ZN9rocsparseL28internal_extract_fill_kernelILj1024EfliEEvT2_PKT1_PKS1_PKT0_21rocsparse_index_base_b20rocsparse_diag_type_S4_PS1_PS7_SA_.has_recursion, 0
	.set _ZN9rocsparseL28internal_extract_fill_kernelILj1024EfliEEvT2_PKT1_PKS1_PKT0_21rocsparse_index_base_b20rocsparse_diag_type_S4_PS1_PS7_SA_.has_indirect_call, 0
	.section	.AMDGPU.csdata,"",@progbits
; Kernel info:
; codeLenInByte = 600
; TotalNumSgprs: 22
; NumVgprs: 17
; ScratchSize: 0
; MemoryBound: 0
; FloatMode: 240
; IeeeMode: 1
; LDSByteSize: 0 bytes/workgroup (compile time only)
; SGPRBlocks: 0
; VGPRBlocks: 1
; NumSGPRsForWavesPerEU: 22
; NumVGPRsForWavesPerEU: 17
; NamedBarCnt: 0
; Occupancy: 16
; WaveLimiterHint : 0
; COMPUTE_PGM_RSRC2:SCRATCH_EN: 0
; COMPUTE_PGM_RSRC2:USER_SGPR: 2
; COMPUTE_PGM_RSRC2:TRAP_HANDLER: 0
; COMPUTE_PGM_RSRC2:TGID_X_EN: 1
; COMPUTE_PGM_RSRC2:TGID_Y_EN: 0
; COMPUTE_PGM_RSRC2:TGID_Z_EN: 0
; COMPUTE_PGM_RSRC2:TIDIG_COMP_CNT: 0
	.section	.text._ZN9rocsparseL28internal_extract_fill_kernelILj1024EfllEEvT2_PKT1_PKS1_PKT0_21rocsparse_index_base_b20rocsparse_diag_type_S4_PS1_PS7_SA_,"axG",@progbits,_ZN9rocsparseL28internal_extract_fill_kernelILj1024EfllEEvT2_PKT1_PKS1_PKT0_21rocsparse_index_base_b20rocsparse_diag_type_S4_PS1_PS7_SA_,comdat
	.globl	_ZN9rocsparseL28internal_extract_fill_kernelILj1024EfllEEvT2_PKT1_PKS1_PKT0_21rocsparse_index_base_b20rocsparse_diag_type_S4_PS1_PS7_SA_ ; -- Begin function _ZN9rocsparseL28internal_extract_fill_kernelILj1024EfllEEvT2_PKT1_PKS1_PKT0_21rocsparse_index_base_b20rocsparse_diag_type_S4_PS1_PS7_SA_
	.p2align	8
	.type	_ZN9rocsparseL28internal_extract_fill_kernelILj1024EfllEEvT2_PKT1_PKS1_PKT0_21rocsparse_index_base_b20rocsparse_diag_type_S4_PS1_PS7_SA_,@function
_ZN9rocsparseL28internal_extract_fill_kernelILj1024EfllEEvT2_PKT1_PKS1_PKT0_21rocsparse_index_base_b20rocsparse_diag_type_S4_PS1_PS7_SA_: ; @_ZN9rocsparseL28internal_extract_fill_kernelILj1024EfllEEvT2_PKT1_PKS1_PKT0_21rocsparse_index_base_b20rocsparse_diag_type_S4_PS1_PS7_SA_
; %bb.0:
	s_clause 0x1
	s_load_b32 s4, s[0:1], 0x5c
	s_load_b64 s[2:3], s[0:1], 0x0
	s_bfe_u32 s5, ttmp6, 0x4000c
	s_and_b32 s6, ttmp6, 15
	s_add_co_i32 s5, s5, 1
	s_getreg_b32 s7, hwreg(HW_REG_IB_STS2, 6, 4)
	s_mul_i32 s5, ttmp9, s5
	v_mov_b32_e32 v5, 0
	s_add_co_i32 s6, s6, s5
	s_wait_kmcnt 0x0
	s_and_b32 s4, s4, 0xffff
	s_cmp_eq_u32 s7, 0
	s_cselect_b32 s5, ttmp9, s6
	s_delay_alu instid0(SALU_CYCLE_1) | instskip(NEXT) | instid1(VALU_DEP_1)
	v_mad_u32 v4, s5, s4, v0
	v_cmp_gt_i64_e32 vcc_lo, s[2:3], v[4:5]
	s_and_saveexec_b32 s2, vcc_lo
	s_cbranch_execz .LBB19_17
; %bb.1:
	s_load_b64 s[2:3], s[0:1], 0x8
	s_wait_kmcnt 0x0
	v_lshl_add_u64 v[0:1], v[4:5], 3, s[2:3]
	global_load_b128 v[0:3], v[0:1], off
	s_wait_loadcnt 0x0
	v_cmp_lt_i64_e32 vcc_lo, v[0:1], v[2:3]
	s_and_b32 exec_lo, exec_lo, vcc_lo
	s_cbranch_execz .LBB19_17
; %bb.2:
	s_load_b128 s[4:7], s[0:1], 0x30
	v_lshlrev_b64_e32 v[10:11], 3, v[0:1]
	s_wait_kmcnt 0x0
	v_lshl_add_u64 v[6:7], v[4:5], 3, s[4:5]
	global_load_b64 v[8:9], v[6:7], off
	s_clause 0x2
	s_load_b96 s[16:18], s[0:1], 0x20
	s_load_b96 s[8:10], s[0:1], 0x40
	s_load_b128 s[12:15], s[0:1], 0x10
	v_lshlrev_b64_e32 v[6:7], 2, v[0:1]
	s_wait_xcnt 0x0
	s_mov_b32 s1, 0
	s_delay_alu instid0(SALU_CYCLE_1)
	s_mov_b32 s3, s1
	s_wait_kmcnt 0x0
	s_bitcmp1_b32 s17, 0
	s_mov_b32 s2, s16
	s_cselect_b32 s0, -1, 0
	v_sub_nc_u64_e64 v[2:3], v[2:3], s[2:3]
	s_xor_b32 s4, s0, -1
	s_cmp_lg_u32 s18, 1
	s_mov_b32 s0, s10
	s_cselect_b32 s5, -1, 0
	s_lshl_b64 s[16:17], s[2:3], 2
	s_lshl_b64 s[18:19], s[2:3], 3
	v_sub_nc_u64_e64 v[6:7], v[6:7], s[16:17]
	v_sub_nc_u64_e64 v[12:13], v[10:11], s[18:19]
	v_sub_nc_u64_e64 v[0:1], v[0:1], s[2:3]
	s_mov_b32 s10, s1
	s_delay_alu instid0(VALU_DEP_3) | instskip(SKIP_2) | instid1(VALU_DEP_4)
	v_add_nc_u64_e32 v[6:7], s[14:15], v[6:7]
	s_wait_loadcnt 0x0
	v_sub_nc_u64_e64 v[10:11], v[8:9], s[0:1]
	v_add_nc_u64_e32 v[8:9], s[12:13], v[12:13]
	s_branch .LBB19_4
.LBB19_3:                               ;   in Loop: Header=BB19_4 Depth=1
	s_wait_xcnt 0x0
	s_or_b32 exec_lo, exec_lo, s12
	v_add_nc_u64_e32 v[0:1], 1, v[0:1]
	v_add_nc_u64_e32 v[6:7], 4, v[6:7]
	;; [unrolled: 1-line block ×3, first 2 shown]
	s_delay_alu instid0(VALU_DEP_3) | instskip(SKIP_1) | instid1(SALU_CYCLE_1)
	v_cmp_ge_i64_e32 vcc_lo, v[0:1], v[2:3]
	s_or_b32 s10, vcc_lo, s10
	s_and_not1_b32 exec_lo, exec_lo, s10
	s_cbranch_execz .LBB19_17
.LBB19_4:                               ; =>This Inner Loop Header: Depth=1
	global_load_b64 v[12:13], v[8:9], off
	s_and_b32 vcc_lo, exec_lo, s4
	s_mov_b32 s12, -1
                                        ; implicit-def: $sgpr11
	s_wait_loadcnt 0x0
	v_sub_nc_u64_e64 v[12:13], v[12:13], s[2:3]
	s_cbranch_vccz .LBB19_10
; %bb.5:                                ;   in Loop: Header=BB19_4 Depth=1
	s_and_b32 vcc_lo, exec_lo, s5
                                        ; implicit-def: $sgpr11
	s_cbranch_vccz .LBB19_7
; %bb.6:                                ;   in Loop: Header=BB19_4 Depth=1
	s_delay_alu instid0(VALU_DEP_1)
	v_cmp_ge_i64_e64 s11, v[12:13], v[4:5]
	s_mov_b32 s12, 0
.LBB19_7:                               ;   in Loop: Header=BB19_4 Depth=1
	s_delay_alu instid0(SALU_CYCLE_1)
	s_and_not1_b32 vcc_lo, exec_lo, s12
	s_cbranch_vccnz .LBB19_9
; %bb.8:                                ;   in Loop: Header=BB19_4 Depth=1
	s_delay_alu instid0(VALU_DEP_1) | instskip(SKIP_2) | instid1(SALU_CYCLE_1)
	v_cmp_gt_i64_e32 vcc_lo, v[12:13], v[4:5]
	s_and_not1_b32 s11, s11, exec_lo
	s_and_b32 s12, vcc_lo, exec_lo
	s_or_b32 s11, s11, s12
.LBB19_9:                               ;   in Loop: Header=BB19_4 Depth=1
	s_mov_b32 s12, 0
.LBB19_10:                              ;   in Loop: Header=BB19_4 Depth=1
	s_delay_alu instid0(SALU_CYCLE_1)
	s_and_not1_b32 vcc_lo, exec_lo, s12
	s_cbranch_vccnz .LBB19_15
; %bb.11:                               ;   in Loop: Header=BB19_4 Depth=1
	s_and_b32 vcc_lo, exec_lo, s5
	s_mov_b32 s12, -1
                                        ; implicit-def: $sgpr11
	s_cbranch_vccz .LBB19_13
; %bb.12:                               ;   in Loop: Header=BB19_4 Depth=1
	v_cmp_le_i64_e64 s11, v[12:13], v[4:5]
	s_mov_b32 s12, 0
.LBB19_13:                              ;   in Loop: Header=BB19_4 Depth=1
	s_delay_alu instid0(SALU_CYCLE_1)
	s_and_not1_b32 vcc_lo, exec_lo, s12
	s_cbranch_vccnz .LBB19_15
; %bb.14:                               ;   in Loop: Header=BB19_4 Depth=1
	v_cmp_lt_i64_e32 vcc_lo, v[12:13], v[4:5]
	s_and_not1_b32 s11, s11, exec_lo
	s_and_b32 s12, vcc_lo, exec_lo
	s_delay_alu instid0(SALU_CYCLE_1)
	s_or_b32 s11, s11, s12
.LBB19_15:                              ;   in Loop: Header=BB19_4 Depth=1
	s_wait_xcnt 0x0
	s_and_saveexec_b32 s12, s11
	s_cbranch_execz .LBB19_3
; %bb.16:                               ;   in Loop: Header=BB19_4 Depth=1
	global_load_b32 v20, v[6:7], off
	v_add_nc_u64_e32 v[14:15], 1, v[10:11]
	v_add_nc_u64_e32 v[12:13], s[0:1], v[12:13]
	v_lshl_add_u64 v[16:17], v[10:11], 3, s[6:7]
	v_lshl_add_u64 v[18:19], v[10:11], 2, s[8:9]
	global_store_b64 v[16:17], v[12:13], off
	s_wait_loadcnt 0x0
	global_store_b32 v[18:19], v20, off
	v_mov_b64_e32 v[10:11], v[14:15]
	s_branch .LBB19_3
.LBB19_17:
	s_endpgm
	.section	.rodata,"a",@progbits
	.p2align	6, 0x0
	.amdhsa_kernel _ZN9rocsparseL28internal_extract_fill_kernelILj1024EfllEEvT2_PKT1_PKS1_PKT0_21rocsparse_index_base_b20rocsparse_diag_type_S4_PS1_PS7_SA_
		.amdhsa_group_segment_fixed_size 0
		.amdhsa_private_segment_fixed_size 0
		.amdhsa_kernarg_size 336
		.amdhsa_user_sgpr_count 2
		.amdhsa_user_sgpr_dispatch_ptr 0
		.amdhsa_user_sgpr_queue_ptr 0
		.amdhsa_user_sgpr_kernarg_segment_ptr 1
		.amdhsa_user_sgpr_dispatch_id 0
		.amdhsa_user_sgpr_kernarg_preload_length 0
		.amdhsa_user_sgpr_kernarg_preload_offset 0
		.amdhsa_user_sgpr_private_segment_size 0
		.amdhsa_wavefront_size32 1
		.amdhsa_uses_dynamic_stack 0
		.amdhsa_enable_private_segment 0
		.amdhsa_system_sgpr_workgroup_id_x 1
		.amdhsa_system_sgpr_workgroup_id_y 0
		.amdhsa_system_sgpr_workgroup_id_z 0
		.amdhsa_system_sgpr_workgroup_info 0
		.amdhsa_system_vgpr_workitem_id 0
		.amdhsa_next_free_vgpr 21
		.amdhsa_next_free_sgpr 20
		.amdhsa_named_barrier_count 0
		.amdhsa_reserve_vcc 1
		.amdhsa_float_round_mode_32 0
		.amdhsa_float_round_mode_16_64 0
		.amdhsa_float_denorm_mode_32 3
		.amdhsa_float_denorm_mode_16_64 3
		.amdhsa_fp16_overflow 0
		.amdhsa_memory_ordered 1
		.amdhsa_forward_progress 1
		.amdhsa_inst_pref_size 5
		.amdhsa_round_robin_scheduling 0
		.amdhsa_exception_fp_ieee_invalid_op 0
		.amdhsa_exception_fp_denorm_src 0
		.amdhsa_exception_fp_ieee_div_zero 0
		.amdhsa_exception_fp_ieee_overflow 0
		.amdhsa_exception_fp_ieee_underflow 0
		.amdhsa_exception_fp_ieee_inexact 0
		.amdhsa_exception_int_div_zero 0
	.end_amdhsa_kernel
	.section	.text._ZN9rocsparseL28internal_extract_fill_kernelILj1024EfllEEvT2_PKT1_PKS1_PKT0_21rocsparse_index_base_b20rocsparse_diag_type_S4_PS1_PS7_SA_,"axG",@progbits,_ZN9rocsparseL28internal_extract_fill_kernelILj1024EfllEEvT2_PKT1_PKS1_PKT0_21rocsparse_index_base_b20rocsparse_diag_type_S4_PS1_PS7_SA_,comdat
.Lfunc_end19:
	.size	_ZN9rocsparseL28internal_extract_fill_kernelILj1024EfllEEvT2_PKT1_PKS1_PKT0_21rocsparse_index_base_b20rocsparse_diag_type_S4_PS1_PS7_SA_, .Lfunc_end19-_ZN9rocsparseL28internal_extract_fill_kernelILj1024EfllEEvT2_PKT1_PKS1_PKT0_21rocsparse_index_base_b20rocsparse_diag_type_S4_PS1_PS7_SA_
                                        ; -- End function
	.set _ZN9rocsparseL28internal_extract_fill_kernelILj1024EfllEEvT2_PKT1_PKS1_PKT0_21rocsparse_index_base_b20rocsparse_diag_type_S4_PS1_PS7_SA_.num_vgpr, 21
	.set _ZN9rocsparseL28internal_extract_fill_kernelILj1024EfllEEvT2_PKT1_PKS1_PKT0_21rocsparse_index_base_b20rocsparse_diag_type_S4_PS1_PS7_SA_.num_agpr, 0
	.set _ZN9rocsparseL28internal_extract_fill_kernelILj1024EfllEEvT2_PKT1_PKS1_PKT0_21rocsparse_index_base_b20rocsparse_diag_type_S4_PS1_PS7_SA_.numbered_sgpr, 20
	.set _ZN9rocsparseL28internal_extract_fill_kernelILj1024EfllEEvT2_PKT1_PKS1_PKT0_21rocsparse_index_base_b20rocsparse_diag_type_S4_PS1_PS7_SA_.num_named_barrier, 0
	.set _ZN9rocsparseL28internal_extract_fill_kernelILj1024EfllEEvT2_PKT1_PKS1_PKT0_21rocsparse_index_base_b20rocsparse_diag_type_S4_PS1_PS7_SA_.private_seg_size, 0
	.set _ZN9rocsparseL28internal_extract_fill_kernelILj1024EfllEEvT2_PKT1_PKS1_PKT0_21rocsparse_index_base_b20rocsparse_diag_type_S4_PS1_PS7_SA_.uses_vcc, 1
	.set _ZN9rocsparseL28internal_extract_fill_kernelILj1024EfllEEvT2_PKT1_PKS1_PKT0_21rocsparse_index_base_b20rocsparse_diag_type_S4_PS1_PS7_SA_.uses_flat_scratch, 0
	.set _ZN9rocsparseL28internal_extract_fill_kernelILj1024EfllEEvT2_PKT1_PKS1_PKT0_21rocsparse_index_base_b20rocsparse_diag_type_S4_PS1_PS7_SA_.has_dyn_sized_stack, 0
	.set _ZN9rocsparseL28internal_extract_fill_kernelILj1024EfllEEvT2_PKT1_PKS1_PKT0_21rocsparse_index_base_b20rocsparse_diag_type_S4_PS1_PS7_SA_.has_recursion, 0
	.set _ZN9rocsparseL28internal_extract_fill_kernelILj1024EfllEEvT2_PKT1_PKS1_PKT0_21rocsparse_index_base_b20rocsparse_diag_type_S4_PS1_PS7_SA_.has_indirect_call, 0
	.section	.AMDGPU.csdata,"",@progbits
; Kernel info:
; codeLenInByte = 624
; TotalNumSgprs: 22
; NumVgprs: 21
; ScratchSize: 0
; MemoryBound: 0
; FloatMode: 240
; IeeeMode: 1
; LDSByteSize: 0 bytes/workgroup (compile time only)
; SGPRBlocks: 0
; VGPRBlocks: 1
; NumSGPRsForWavesPerEU: 22
; NumVGPRsForWavesPerEU: 21
; NamedBarCnt: 0
; Occupancy: 16
; WaveLimiterHint : 0
; COMPUTE_PGM_RSRC2:SCRATCH_EN: 0
; COMPUTE_PGM_RSRC2:USER_SGPR: 2
; COMPUTE_PGM_RSRC2:TRAP_HANDLER: 0
; COMPUTE_PGM_RSRC2:TGID_X_EN: 1
; COMPUTE_PGM_RSRC2:TGID_Y_EN: 0
; COMPUTE_PGM_RSRC2:TGID_Z_EN: 0
; COMPUTE_PGM_RSRC2:TIDIG_COMP_CNT: 0
	.section	.text._ZN9rocsparseL28internal_extract_fill_kernelILj1024EdiiEEvT2_PKT1_PKS1_PKT0_21rocsparse_index_base_b20rocsparse_diag_type_S4_PS1_PS7_SA_,"axG",@progbits,_ZN9rocsparseL28internal_extract_fill_kernelILj1024EdiiEEvT2_PKT1_PKS1_PKT0_21rocsparse_index_base_b20rocsparse_diag_type_S4_PS1_PS7_SA_,comdat
	.globl	_ZN9rocsparseL28internal_extract_fill_kernelILj1024EdiiEEvT2_PKT1_PKS1_PKT0_21rocsparse_index_base_b20rocsparse_diag_type_S4_PS1_PS7_SA_ ; -- Begin function _ZN9rocsparseL28internal_extract_fill_kernelILj1024EdiiEEvT2_PKT1_PKS1_PKT0_21rocsparse_index_base_b20rocsparse_diag_type_S4_PS1_PS7_SA_
	.p2align	8
	.type	_ZN9rocsparseL28internal_extract_fill_kernelILj1024EdiiEEvT2_PKT1_PKS1_PKT0_21rocsparse_index_base_b20rocsparse_diag_type_S4_PS1_PS7_SA_,@function
_ZN9rocsparseL28internal_extract_fill_kernelILj1024EdiiEEvT2_PKT1_PKS1_PKT0_21rocsparse_index_base_b20rocsparse_diag_type_S4_PS1_PS7_SA_: ; @_ZN9rocsparseL28internal_extract_fill_kernelILj1024EdiiEEvT2_PKT1_PKS1_PKT0_21rocsparse_index_base_b20rocsparse_diag_type_S4_PS1_PS7_SA_
; %bb.0:
	s_clause 0x1
	s_load_b32 s2, s[0:1], 0x5c
	s_load_b32 s3, s[0:1], 0x0
	s_bfe_u32 s4, ttmp6, 0x4000c
	s_and_b32 s5, ttmp6, 15
	s_add_co_i32 s4, s4, 1
	s_getreg_b32 s6, hwreg(HW_REG_IB_STS2, 6, 4)
	s_mul_i32 s4, ttmp9, s4
	s_delay_alu instid0(SALU_CYCLE_1) | instskip(SKIP_4) | instid1(SALU_CYCLE_1)
	s_add_co_i32 s5, s5, s4
	s_wait_kmcnt 0x0
	s_and_b32 s2, s2, 0xffff
	s_cmp_eq_u32 s6, 0
	s_cselect_b32 s4, ttmp9, s5
	v_mad_u32 v0, s4, s2, v0
	s_mov_b32 s2, exec_lo
	s_delay_alu instid0(VALU_DEP_1)
	v_cmpx_gt_i32_e64 s3, v0
	s_cbranch_execz .LBB20_17
; %bb.1:
	s_load_b64 s[2:3], s[0:1], 0x8
	v_ashrrev_i32_e32 v1, 31, v0
	s_wait_kmcnt 0x0
	s_delay_alu instid0(VALU_DEP_1)
	v_lshl_add_u64 v[2:3], v[0:1], 2, s[2:3]
	global_load_b64 v[4:5], v[2:3], off
	s_wait_loadcnt 0x0
	v_cmp_lt_i32_e32 vcc_lo, v4, v5
	s_and_b32 exec_lo, exec_lo, vcc_lo
	s_cbranch_execz .LBB20_17
; %bb.2:
	s_load_b128 s[4:7], s[0:1], 0x30
	s_mov_b32 s2, 0
	s_wait_kmcnt 0x0
	v_lshl_add_u64 v[2:3], v[0:1], 2, s[4:5]
	global_load_b32 v6, v[2:3], off
	s_clause 0x2
	s_load_b96 s[8:10], s[0:1], 0x20
	s_load_b128 s[16:19], s[0:1], 0x10
	s_load_b96 s[12:14], s[0:1], 0x40
	s_wait_kmcnt 0x0
	v_subrev_nc_u32_e32 v2, s8, v4
	s_bitcmp1_b32 s9, 0
	v_subrev_nc_u32_e32 v1, s8, v5
	s_cselect_b32 s0, -1, 0
	s_delay_alu instid0(VALU_DEP_2) | instskip(SKIP_3) | instid1(VALU_DEP_1)
	v_ashrrev_i32_e32 v3, 31, v2
	s_xor_b32 s0, s0, -1
	s_cmp_lg_u32 s10, 1
	s_cselect_b32 s1, -1, 0
	v_lshl_add_u64 v[4:5], v[2:3], 2, s[16:17]
	s_wait_loadcnt 0x0
	v_subrev_nc_u32_e32 v8, s14, v6
	v_lshl_add_u64 v[6:7], v[2:3], 3, s[18:19]
	s_branch .LBB20_4
.LBB20_3:                               ;   in Loop: Header=BB20_4 Depth=1
	s_or_b32 exec_lo, exec_lo, s4
	v_add_nc_u32_e32 v2, 1, v2
	v_add_nc_u64_e32 v[4:5], 4, v[4:5]
	v_add_nc_u64_e32 v[6:7], 8, v[6:7]
	s_delay_alu instid0(VALU_DEP_3) | instskip(SKIP_1) | instid1(SALU_CYCLE_1)
	v_cmp_ge_i32_e32 vcc_lo, v2, v1
	s_or_b32 s2, vcc_lo, s2
	s_and_not1_b32 exec_lo, exec_lo, s2
	s_cbranch_execz .LBB20_17
.LBB20_4:                               ; =>This Inner Loop Header: Depth=1
	global_load_b32 v3, v[4:5], off
	s_and_b32 vcc_lo, exec_lo, s0
	s_mov_b32 s4, -1
                                        ; implicit-def: $sgpr3
	s_wait_loadcnt 0x0
	v_subrev_nc_u32_e32 v3, s8, v3
	s_cbranch_vccz .LBB20_10
; %bb.5:                                ;   in Loop: Header=BB20_4 Depth=1
	s_and_b32 vcc_lo, exec_lo, s1
                                        ; implicit-def: $sgpr3
	s_cbranch_vccz .LBB20_7
; %bb.6:                                ;   in Loop: Header=BB20_4 Depth=1
	s_delay_alu instid0(VALU_DEP_1)
	v_cmp_le_i32_e64 s3, v0, v3
	s_mov_b32 s4, 0
.LBB20_7:                               ;   in Loop: Header=BB20_4 Depth=1
	s_delay_alu instid0(SALU_CYCLE_1)
	s_and_not1_b32 vcc_lo, exec_lo, s4
	s_cbranch_vccnz .LBB20_9
; %bb.8:                                ;   in Loop: Header=BB20_4 Depth=1
	v_cmp_lt_i32_e32 vcc_lo, v0, v3
	s_and_not1_b32 s3, s3, exec_lo
	s_and_b32 s4, vcc_lo, exec_lo
	s_delay_alu instid0(SALU_CYCLE_1)
	s_or_b32 s3, s3, s4
.LBB20_9:                               ;   in Loop: Header=BB20_4 Depth=1
	s_mov_b32 s4, 0
.LBB20_10:                              ;   in Loop: Header=BB20_4 Depth=1
	s_delay_alu instid0(SALU_CYCLE_1)
	s_and_not1_b32 vcc_lo, exec_lo, s4
	s_cbranch_vccnz .LBB20_15
; %bb.11:                               ;   in Loop: Header=BB20_4 Depth=1
	s_and_b32 vcc_lo, exec_lo, s1
	s_mov_b32 s4, -1
                                        ; implicit-def: $sgpr3
	s_cbranch_vccz .LBB20_13
; %bb.12:                               ;   in Loop: Header=BB20_4 Depth=1
	v_cmp_ge_i32_e64 s3, v0, v3
	s_mov_b32 s4, 0
.LBB20_13:                              ;   in Loop: Header=BB20_4 Depth=1
	s_delay_alu instid0(SALU_CYCLE_1)
	s_and_not1_b32 vcc_lo, exec_lo, s4
	s_cbranch_vccnz .LBB20_15
; %bb.14:                               ;   in Loop: Header=BB20_4 Depth=1
	v_cmp_gt_i32_e32 vcc_lo, v0, v3
	s_and_not1_b32 s3, s3, exec_lo
	s_and_b32 s4, vcc_lo, exec_lo
	s_delay_alu instid0(SALU_CYCLE_1)
	s_or_b32 s3, s3, s4
.LBB20_15:                              ;   in Loop: Header=BB20_4 Depth=1
	s_wait_xcnt 0x0
	s_and_saveexec_b32 s4, s3
	s_cbranch_execz .LBB20_3
; %bb.16:                               ;   in Loop: Header=BB20_4 Depth=1
	global_load_b64 v[10:11], v[6:7], off
	v_dual_add_nc_u32 v3, s14, v3 :: v_dual_add_nc_u32 v9, 1, v8
	global_store_b32 v8, v3, s[6:7] scale_offset
	s_wait_loadcnt 0x0
	global_store_b64 v8, v[10:11], s[12:13] scale_offset
	s_wait_xcnt 0x0
	v_mov_b32_e32 v8, v9
	s_branch .LBB20_3
.LBB20_17:
	s_endpgm
	.section	.rodata,"a",@progbits
	.p2align	6, 0x0
	.amdhsa_kernel _ZN9rocsparseL28internal_extract_fill_kernelILj1024EdiiEEvT2_PKT1_PKS1_PKT0_21rocsparse_index_base_b20rocsparse_diag_type_S4_PS1_PS7_SA_
		.amdhsa_group_segment_fixed_size 0
		.amdhsa_private_segment_fixed_size 0
		.amdhsa_kernarg_size 336
		.amdhsa_user_sgpr_count 2
		.amdhsa_user_sgpr_dispatch_ptr 0
		.amdhsa_user_sgpr_queue_ptr 0
		.amdhsa_user_sgpr_kernarg_segment_ptr 1
		.amdhsa_user_sgpr_dispatch_id 0
		.amdhsa_user_sgpr_kernarg_preload_length 0
		.amdhsa_user_sgpr_kernarg_preload_offset 0
		.amdhsa_user_sgpr_private_segment_size 0
		.amdhsa_wavefront_size32 1
		.amdhsa_uses_dynamic_stack 0
		.amdhsa_enable_private_segment 0
		.amdhsa_system_sgpr_workgroup_id_x 1
		.amdhsa_system_sgpr_workgroup_id_y 0
		.amdhsa_system_sgpr_workgroup_id_z 0
		.amdhsa_system_sgpr_workgroup_info 0
		.amdhsa_system_vgpr_workitem_id 0
		.amdhsa_next_free_vgpr 12
		.amdhsa_next_free_sgpr 20
		.amdhsa_named_barrier_count 0
		.amdhsa_reserve_vcc 1
		.amdhsa_float_round_mode_32 0
		.amdhsa_float_round_mode_16_64 0
		.amdhsa_float_denorm_mode_32 3
		.amdhsa_float_denorm_mode_16_64 3
		.amdhsa_fp16_overflow 0
		.amdhsa_memory_ordered 1
		.amdhsa_forward_progress 1
		.amdhsa_inst_pref_size 5
		.amdhsa_round_robin_scheduling 0
		.amdhsa_exception_fp_ieee_invalid_op 0
		.amdhsa_exception_fp_denorm_src 0
		.amdhsa_exception_fp_ieee_div_zero 0
		.amdhsa_exception_fp_ieee_overflow 0
		.amdhsa_exception_fp_ieee_underflow 0
		.amdhsa_exception_fp_ieee_inexact 0
		.amdhsa_exception_int_div_zero 0
	.end_amdhsa_kernel
	.section	.text._ZN9rocsparseL28internal_extract_fill_kernelILj1024EdiiEEvT2_PKT1_PKS1_PKT0_21rocsparse_index_base_b20rocsparse_diag_type_S4_PS1_PS7_SA_,"axG",@progbits,_ZN9rocsparseL28internal_extract_fill_kernelILj1024EdiiEEvT2_PKT1_PKS1_PKT0_21rocsparse_index_base_b20rocsparse_diag_type_S4_PS1_PS7_SA_,comdat
.Lfunc_end20:
	.size	_ZN9rocsparseL28internal_extract_fill_kernelILj1024EdiiEEvT2_PKT1_PKS1_PKT0_21rocsparse_index_base_b20rocsparse_diag_type_S4_PS1_PS7_SA_, .Lfunc_end20-_ZN9rocsparseL28internal_extract_fill_kernelILj1024EdiiEEvT2_PKT1_PKS1_PKT0_21rocsparse_index_base_b20rocsparse_diag_type_S4_PS1_PS7_SA_
                                        ; -- End function
	.set _ZN9rocsparseL28internal_extract_fill_kernelILj1024EdiiEEvT2_PKT1_PKS1_PKT0_21rocsparse_index_base_b20rocsparse_diag_type_S4_PS1_PS7_SA_.num_vgpr, 12
	.set _ZN9rocsparseL28internal_extract_fill_kernelILj1024EdiiEEvT2_PKT1_PKS1_PKT0_21rocsparse_index_base_b20rocsparse_diag_type_S4_PS1_PS7_SA_.num_agpr, 0
	.set _ZN9rocsparseL28internal_extract_fill_kernelILj1024EdiiEEvT2_PKT1_PKS1_PKT0_21rocsparse_index_base_b20rocsparse_diag_type_S4_PS1_PS7_SA_.numbered_sgpr, 20
	.set _ZN9rocsparseL28internal_extract_fill_kernelILj1024EdiiEEvT2_PKT1_PKS1_PKT0_21rocsparse_index_base_b20rocsparse_diag_type_S4_PS1_PS7_SA_.num_named_barrier, 0
	.set _ZN9rocsparseL28internal_extract_fill_kernelILj1024EdiiEEvT2_PKT1_PKS1_PKT0_21rocsparse_index_base_b20rocsparse_diag_type_S4_PS1_PS7_SA_.private_seg_size, 0
	.set _ZN9rocsparseL28internal_extract_fill_kernelILj1024EdiiEEvT2_PKT1_PKS1_PKT0_21rocsparse_index_base_b20rocsparse_diag_type_S4_PS1_PS7_SA_.uses_vcc, 1
	.set _ZN9rocsparseL28internal_extract_fill_kernelILj1024EdiiEEvT2_PKT1_PKS1_PKT0_21rocsparse_index_base_b20rocsparse_diag_type_S4_PS1_PS7_SA_.uses_flat_scratch, 0
	.set _ZN9rocsparseL28internal_extract_fill_kernelILj1024EdiiEEvT2_PKT1_PKS1_PKT0_21rocsparse_index_base_b20rocsparse_diag_type_S4_PS1_PS7_SA_.has_dyn_sized_stack, 0
	.set _ZN9rocsparseL28internal_extract_fill_kernelILj1024EdiiEEvT2_PKT1_PKS1_PKT0_21rocsparse_index_base_b20rocsparse_diag_type_S4_PS1_PS7_SA_.has_recursion, 0
	.set _ZN9rocsparseL28internal_extract_fill_kernelILj1024EdiiEEvT2_PKT1_PKS1_PKT0_21rocsparse_index_base_b20rocsparse_diag_type_S4_PS1_PS7_SA_.has_indirect_call, 0
	.section	.AMDGPU.csdata,"",@progbits
; Kernel info:
; codeLenInByte = 564
; TotalNumSgprs: 22
; NumVgprs: 12
; ScratchSize: 0
; MemoryBound: 0
; FloatMode: 240
; IeeeMode: 1
; LDSByteSize: 0 bytes/workgroup (compile time only)
; SGPRBlocks: 0
; VGPRBlocks: 0
; NumSGPRsForWavesPerEU: 22
; NumVGPRsForWavesPerEU: 12
; NamedBarCnt: 0
; Occupancy: 16
; WaveLimiterHint : 0
; COMPUTE_PGM_RSRC2:SCRATCH_EN: 0
; COMPUTE_PGM_RSRC2:USER_SGPR: 2
; COMPUTE_PGM_RSRC2:TRAP_HANDLER: 0
; COMPUTE_PGM_RSRC2:TGID_X_EN: 1
; COMPUTE_PGM_RSRC2:TGID_Y_EN: 0
; COMPUTE_PGM_RSRC2:TGID_Z_EN: 0
; COMPUTE_PGM_RSRC2:TIDIG_COMP_CNT: 0
	.section	.text._ZN9rocsparseL28internal_extract_fill_kernelILj1024EdilEEvT2_PKT1_PKS1_PKT0_21rocsparse_index_base_b20rocsparse_diag_type_S4_PS1_PS7_SA_,"axG",@progbits,_ZN9rocsparseL28internal_extract_fill_kernelILj1024EdilEEvT2_PKT1_PKS1_PKT0_21rocsparse_index_base_b20rocsparse_diag_type_S4_PS1_PS7_SA_,comdat
	.globl	_ZN9rocsparseL28internal_extract_fill_kernelILj1024EdilEEvT2_PKT1_PKS1_PKT0_21rocsparse_index_base_b20rocsparse_diag_type_S4_PS1_PS7_SA_ ; -- Begin function _ZN9rocsparseL28internal_extract_fill_kernelILj1024EdilEEvT2_PKT1_PKS1_PKT0_21rocsparse_index_base_b20rocsparse_diag_type_S4_PS1_PS7_SA_
	.p2align	8
	.type	_ZN9rocsparseL28internal_extract_fill_kernelILj1024EdilEEvT2_PKT1_PKS1_PKT0_21rocsparse_index_base_b20rocsparse_diag_type_S4_PS1_PS7_SA_,@function
_ZN9rocsparseL28internal_extract_fill_kernelILj1024EdilEEvT2_PKT1_PKS1_PKT0_21rocsparse_index_base_b20rocsparse_diag_type_S4_PS1_PS7_SA_: ; @_ZN9rocsparseL28internal_extract_fill_kernelILj1024EdilEEvT2_PKT1_PKS1_PKT0_21rocsparse_index_base_b20rocsparse_diag_type_S4_PS1_PS7_SA_
; %bb.0:
	s_clause 0x1
	s_load_b32 s4, s[0:1], 0x5c
	s_load_b64 s[2:3], s[0:1], 0x0
	s_bfe_u32 s5, ttmp6, 0x4000c
	s_and_b32 s6, ttmp6, 15
	s_add_co_i32 s5, s5, 1
	s_getreg_b32 s7, hwreg(HW_REG_IB_STS2, 6, 4)
	s_mul_i32 s5, ttmp9, s5
	s_delay_alu instid0(SALU_CYCLE_1) | instskip(SKIP_4) | instid1(SALU_CYCLE_1)
	s_add_co_i32 s6, s6, s5
	s_wait_kmcnt 0x0
	s_and_b32 s4, s4, 0xffff
	s_cmp_eq_u32 s7, 0
	s_cselect_b32 s5, ttmp9, s6
	v_mad_u32 v0, s5, s4, v0
	s_delay_alu instid0(VALU_DEP_1) | instskip(NEXT) | instid1(VALU_DEP_1)
	v_ashrrev_i32_e32 v1, 31, v0
	v_cmp_gt_i64_e32 vcc_lo, s[2:3], v[0:1]
	s_and_saveexec_b32 s2, vcc_lo
	s_cbranch_execz .LBB21_17
; %bb.1:
	s_load_b64 s[2:3], s[0:1], 0x8
	s_wait_kmcnt 0x0
	v_lshl_add_u64 v[2:3], v[0:1], 2, s[2:3]
	global_load_b64 v[4:5], v[2:3], off
	s_wait_loadcnt 0x0
	v_cmp_lt_i32_e32 vcc_lo, v4, v5
	s_and_b32 exec_lo, exec_lo, vcc_lo
	s_cbranch_execz .LBB21_17
; %bb.2:
	s_load_b128 s[4:7], s[0:1], 0x30
	s_wait_kmcnt 0x0
	v_lshl_add_u64 v[2:3], v[0:1], 2, s[4:5]
	global_load_b32 v8, v[2:3], off
	s_clause 0x2
	s_load_b96 s[8:10], s[0:1], 0x20
	s_load_b96 s[12:14], s[0:1], 0x40
	s_load_b128 s[16:19], s[0:1], 0x10
	s_wait_xcnt 0x0
	s_mov_b32 s1, 0
	s_delay_alu instid0(SALU_CYCLE_1)
	s_mov_b32 s4, s1
	s_wait_kmcnt 0x0
	v_subrev_nc_u32_e32 v2, s8, v4
	s_bitcmp1_b32 s9, 0
	s_mov_b32 s0, s14
	s_cselect_b32 s2, -1, 0
	s_mov_b32 s9, s1
	v_ashrrev_i32_e32 v3, 31, v2
	s_xor_b32 s2, s2, -1
	s_cmp_lg_u32 s10, 1
	s_cselect_b32 s3, -1, 0
	s_delay_alu instid0(VALU_DEP_1) | instskip(SKIP_1) | instid1(VALU_DEP_2)
	v_lshlrev_b64_e32 v[6:7], 3, v[2:3]
	v_subrev_nc_u32_e32 v3, s8, v5
	v_add_nc_u64_e32 v[4:5], s[16:17], v[6:7]
	v_add_nc_u64_e32 v[6:7], s[18:19], v[6:7]
	s_wait_loadcnt 0x0
	v_subrev_nc_u32_e32 v10, s14, v8
	s_branch .LBB21_4
.LBB21_3:                               ;   in Loop: Header=BB21_4 Depth=1
	s_or_b32 exec_lo, exec_lo, s10
	v_add_nc_u32_e32 v2, 1, v2
	v_add_nc_u64_e32 v[4:5], 8, v[4:5]
	v_add_nc_u64_e32 v[6:7], 8, v[6:7]
	s_delay_alu instid0(VALU_DEP_3) | instskip(SKIP_1) | instid1(SALU_CYCLE_1)
	v_cmp_ge_i32_e32 vcc_lo, v2, v3
	s_or_b32 s4, vcc_lo, s4
	s_and_not1_b32 exec_lo, exec_lo, s4
	s_cbranch_execz .LBB21_17
.LBB21_4:                               ; =>This Inner Loop Header: Depth=1
	global_load_b64 v[8:9], v[4:5], off
	s_and_b32 vcc_lo, exec_lo, s2
	s_mov_b32 s10, -1
                                        ; implicit-def: $sgpr5
	s_wait_loadcnt 0x0
	v_sub_nc_u64_e64 v[8:9], v[8:9], s[8:9]
	s_cbranch_vccz .LBB21_10
; %bb.5:                                ;   in Loop: Header=BB21_4 Depth=1
	s_and_b32 vcc_lo, exec_lo, s3
                                        ; implicit-def: $sgpr5
	s_cbranch_vccz .LBB21_7
; %bb.6:                                ;   in Loop: Header=BB21_4 Depth=1
	s_delay_alu instid0(VALU_DEP_1)
	v_cmp_ge_i64_e64 s5, v[8:9], v[0:1]
	s_mov_b32 s10, 0
.LBB21_7:                               ;   in Loop: Header=BB21_4 Depth=1
	s_delay_alu instid0(SALU_CYCLE_1)
	s_and_not1_b32 vcc_lo, exec_lo, s10
	s_cbranch_vccnz .LBB21_9
; %bb.8:                                ;   in Loop: Header=BB21_4 Depth=1
	s_delay_alu instid0(VALU_DEP_1) | instskip(SKIP_2) | instid1(SALU_CYCLE_1)
	v_cmp_gt_i64_e32 vcc_lo, v[8:9], v[0:1]
	s_and_not1_b32 s5, s5, exec_lo
	s_and_b32 s10, vcc_lo, exec_lo
	s_or_b32 s5, s5, s10
.LBB21_9:                               ;   in Loop: Header=BB21_4 Depth=1
	s_mov_b32 s10, 0
.LBB21_10:                              ;   in Loop: Header=BB21_4 Depth=1
	s_delay_alu instid0(SALU_CYCLE_1)
	s_and_not1_b32 vcc_lo, exec_lo, s10
	s_cbranch_vccnz .LBB21_15
; %bb.11:                               ;   in Loop: Header=BB21_4 Depth=1
	s_and_b32 vcc_lo, exec_lo, s3
	s_mov_b32 s10, -1
                                        ; implicit-def: $sgpr5
	s_cbranch_vccz .LBB21_13
; %bb.12:                               ;   in Loop: Header=BB21_4 Depth=1
	v_cmp_le_i64_e64 s5, v[8:9], v[0:1]
	s_mov_b32 s10, 0
.LBB21_13:                              ;   in Loop: Header=BB21_4 Depth=1
	s_delay_alu instid0(SALU_CYCLE_1)
	s_and_not1_b32 vcc_lo, exec_lo, s10
	s_cbranch_vccnz .LBB21_15
; %bb.14:                               ;   in Loop: Header=BB21_4 Depth=1
	v_cmp_lt_i64_e32 vcc_lo, v[8:9], v[0:1]
	s_and_not1_b32 s5, s5, exec_lo
	s_and_b32 s10, vcc_lo, exec_lo
	s_delay_alu instid0(SALU_CYCLE_1)
	s_or_b32 s5, s5, s10
.LBB21_15:                              ;   in Loop: Header=BB21_4 Depth=1
	s_wait_xcnt 0x0
	s_and_saveexec_b32 s10, s5
	s_cbranch_execz .LBB21_3
; %bb.16:                               ;   in Loop: Header=BB21_4 Depth=1
	global_load_b64 v[12:13], v[6:7], off
	v_add_nc_u64_e32 v[8:9], s[0:1], v[8:9]
	v_add_nc_u32_e32 v11, 1, v10
	global_store_b64 v10, v[8:9], s[6:7] scale_offset
	s_wait_loadcnt 0x0
	global_store_b64 v10, v[12:13], s[12:13] scale_offset
	s_wait_xcnt 0x0
	v_mov_b32_e32 v10, v11
	s_branch .LBB21_3
.LBB21_17:
	s_endpgm
	.section	.rodata,"a",@progbits
	.p2align	6, 0x0
	.amdhsa_kernel _ZN9rocsparseL28internal_extract_fill_kernelILj1024EdilEEvT2_PKT1_PKS1_PKT0_21rocsparse_index_base_b20rocsparse_diag_type_S4_PS1_PS7_SA_
		.amdhsa_group_segment_fixed_size 0
		.amdhsa_private_segment_fixed_size 0
		.amdhsa_kernarg_size 336
		.amdhsa_user_sgpr_count 2
		.amdhsa_user_sgpr_dispatch_ptr 0
		.amdhsa_user_sgpr_queue_ptr 0
		.amdhsa_user_sgpr_kernarg_segment_ptr 1
		.amdhsa_user_sgpr_dispatch_id 0
		.amdhsa_user_sgpr_kernarg_preload_length 0
		.amdhsa_user_sgpr_kernarg_preload_offset 0
		.amdhsa_user_sgpr_private_segment_size 0
		.amdhsa_wavefront_size32 1
		.amdhsa_uses_dynamic_stack 0
		.amdhsa_enable_private_segment 0
		.amdhsa_system_sgpr_workgroup_id_x 1
		.amdhsa_system_sgpr_workgroup_id_y 0
		.amdhsa_system_sgpr_workgroup_id_z 0
		.amdhsa_system_sgpr_workgroup_info 0
		.amdhsa_system_vgpr_workitem_id 0
		.amdhsa_next_free_vgpr 14
		.amdhsa_next_free_sgpr 20
		.amdhsa_named_barrier_count 0
		.amdhsa_reserve_vcc 1
		.amdhsa_float_round_mode_32 0
		.amdhsa_float_round_mode_16_64 0
		.amdhsa_float_denorm_mode_32 3
		.amdhsa_float_denorm_mode_16_64 3
		.amdhsa_fp16_overflow 0
		.amdhsa_memory_ordered 1
		.amdhsa_forward_progress 1
		.amdhsa_inst_pref_size 5
		.amdhsa_round_robin_scheduling 0
		.amdhsa_exception_fp_ieee_invalid_op 0
		.amdhsa_exception_fp_denorm_src 0
		.amdhsa_exception_fp_ieee_div_zero 0
		.amdhsa_exception_fp_ieee_overflow 0
		.amdhsa_exception_fp_ieee_underflow 0
		.amdhsa_exception_fp_ieee_inexact 0
		.amdhsa_exception_int_div_zero 0
	.end_amdhsa_kernel
	.section	.text._ZN9rocsparseL28internal_extract_fill_kernelILj1024EdilEEvT2_PKT1_PKS1_PKT0_21rocsparse_index_base_b20rocsparse_diag_type_S4_PS1_PS7_SA_,"axG",@progbits,_ZN9rocsparseL28internal_extract_fill_kernelILj1024EdilEEvT2_PKT1_PKS1_PKT0_21rocsparse_index_base_b20rocsparse_diag_type_S4_PS1_PS7_SA_,comdat
.Lfunc_end21:
	.size	_ZN9rocsparseL28internal_extract_fill_kernelILj1024EdilEEvT2_PKT1_PKS1_PKT0_21rocsparse_index_base_b20rocsparse_diag_type_S4_PS1_PS7_SA_, .Lfunc_end21-_ZN9rocsparseL28internal_extract_fill_kernelILj1024EdilEEvT2_PKT1_PKS1_PKT0_21rocsparse_index_base_b20rocsparse_diag_type_S4_PS1_PS7_SA_
                                        ; -- End function
	.set _ZN9rocsparseL28internal_extract_fill_kernelILj1024EdilEEvT2_PKT1_PKS1_PKT0_21rocsparse_index_base_b20rocsparse_diag_type_S4_PS1_PS7_SA_.num_vgpr, 14
	.set _ZN9rocsparseL28internal_extract_fill_kernelILj1024EdilEEvT2_PKT1_PKS1_PKT0_21rocsparse_index_base_b20rocsparse_diag_type_S4_PS1_PS7_SA_.num_agpr, 0
	.set _ZN9rocsparseL28internal_extract_fill_kernelILj1024EdilEEvT2_PKT1_PKS1_PKT0_21rocsparse_index_base_b20rocsparse_diag_type_S4_PS1_PS7_SA_.numbered_sgpr, 20
	.set _ZN9rocsparseL28internal_extract_fill_kernelILj1024EdilEEvT2_PKT1_PKS1_PKT0_21rocsparse_index_base_b20rocsparse_diag_type_S4_PS1_PS7_SA_.num_named_barrier, 0
	.set _ZN9rocsparseL28internal_extract_fill_kernelILj1024EdilEEvT2_PKT1_PKS1_PKT0_21rocsparse_index_base_b20rocsparse_diag_type_S4_PS1_PS7_SA_.private_seg_size, 0
	.set _ZN9rocsparseL28internal_extract_fill_kernelILj1024EdilEEvT2_PKT1_PKS1_PKT0_21rocsparse_index_base_b20rocsparse_diag_type_S4_PS1_PS7_SA_.uses_vcc, 1
	.set _ZN9rocsparseL28internal_extract_fill_kernelILj1024EdilEEvT2_PKT1_PKS1_PKT0_21rocsparse_index_base_b20rocsparse_diag_type_S4_PS1_PS7_SA_.uses_flat_scratch, 0
	.set _ZN9rocsparseL28internal_extract_fill_kernelILj1024EdilEEvT2_PKT1_PKS1_PKT0_21rocsparse_index_base_b20rocsparse_diag_type_S4_PS1_PS7_SA_.has_dyn_sized_stack, 0
	.set _ZN9rocsparseL28internal_extract_fill_kernelILj1024EdilEEvT2_PKT1_PKS1_PKT0_21rocsparse_index_base_b20rocsparse_diag_type_S4_PS1_PS7_SA_.has_recursion, 0
	.set _ZN9rocsparseL28internal_extract_fill_kernelILj1024EdilEEvT2_PKT1_PKS1_PKT0_21rocsparse_index_base_b20rocsparse_diag_type_S4_PS1_PS7_SA_.has_indirect_call, 0
	.section	.AMDGPU.csdata,"",@progbits
; Kernel info:
; codeLenInByte = 572
; TotalNumSgprs: 22
; NumVgprs: 14
; ScratchSize: 0
; MemoryBound: 0
; FloatMode: 240
; IeeeMode: 1
; LDSByteSize: 0 bytes/workgroup (compile time only)
; SGPRBlocks: 0
; VGPRBlocks: 0
; NumSGPRsForWavesPerEU: 22
; NumVGPRsForWavesPerEU: 14
; NamedBarCnt: 0
; Occupancy: 16
; WaveLimiterHint : 0
; COMPUTE_PGM_RSRC2:SCRATCH_EN: 0
; COMPUTE_PGM_RSRC2:USER_SGPR: 2
; COMPUTE_PGM_RSRC2:TRAP_HANDLER: 0
; COMPUTE_PGM_RSRC2:TGID_X_EN: 1
; COMPUTE_PGM_RSRC2:TGID_Y_EN: 0
; COMPUTE_PGM_RSRC2:TGID_Z_EN: 0
; COMPUTE_PGM_RSRC2:TIDIG_COMP_CNT: 0
	.section	.text._ZN9rocsparseL28internal_extract_fill_kernelILj1024EdliEEvT2_PKT1_PKS1_PKT0_21rocsparse_index_base_b20rocsparse_diag_type_S4_PS1_PS7_SA_,"axG",@progbits,_ZN9rocsparseL28internal_extract_fill_kernelILj1024EdliEEvT2_PKT1_PKS1_PKT0_21rocsparse_index_base_b20rocsparse_diag_type_S4_PS1_PS7_SA_,comdat
	.globl	_ZN9rocsparseL28internal_extract_fill_kernelILj1024EdliEEvT2_PKT1_PKS1_PKT0_21rocsparse_index_base_b20rocsparse_diag_type_S4_PS1_PS7_SA_ ; -- Begin function _ZN9rocsparseL28internal_extract_fill_kernelILj1024EdliEEvT2_PKT1_PKS1_PKT0_21rocsparse_index_base_b20rocsparse_diag_type_S4_PS1_PS7_SA_
	.p2align	8
	.type	_ZN9rocsparseL28internal_extract_fill_kernelILj1024EdliEEvT2_PKT1_PKS1_PKT0_21rocsparse_index_base_b20rocsparse_diag_type_S4_PS1_PS7_SA_,@function
_ZN9rocsparseL28internal_extract_fill_kernelILj1024EdliEEvT2_PKT1_PKS1_PKT0_21rocsparse_index_base_b20rocsparse_diag_type_S4_PS1_PS7_SA_: ; @_ZN9rocsparseL28internal_extract_fill_kernelILj1024EdliEEvT2_PKT1_PKS1_PKT0_21rocsparse_index_base_b20rocsparse_diag_type_S4_PS1_PS7_SA_
; %bb.0:
	s_clause 0x1
	s_load_b32 s2, s[0:1], 0x0
	s_load_b32 s4, s[0:1], 0x5c
	s_bfe_u32 s3, ttmp6, 0x4000c
	s_and_b32 s5, ttmp6, 15
	s_add_co_i32 s3, s3, 1
	s_getreg_b32 s6, hwreg(HW_REG_IB_STS2, 6, 4)
	s_mul_i32 s7, ttmp9, s3
	v_mov_b32_e32 v5, 0
	s_add_co_i32 s5, s5, s7
	s_wait_kmcnt 0x0
	s_ashr_i32 s3, s2, 31
	s_and_b32 s4, s4, 0xffff
	s_cmp_eq_u32 s6, 0
	s_cselect_b32 s5, ttmp9, s5
	s_delay_alu instid0(SALU_CYCLE_1) | instskip(NEXT) | instid1(VALU_DEP_1)
	v_mad_u32 v4, s5, s4, v0
	v_cmp_gt_i64_e32 vcc_lo, s[2:3], v[4:5]
	s_and_saveexec_b32 s2, vcc_lo
	s_cbranch_execz .LBB22_17
; %bb.1:
	s_load_b64 s[2:3], s[0:1], 0x8
	s_wait_kmcnt 0x0
	v_lshl_add_u64 v[0:1], v[4:5], 3, s[2:3]
	global_load_b128 v[0:3], v[0:1], off
	s_wait_loadcnt 0x0
	v_cmp_lt_i64_e32 vcc_lo, v[0:1], v[2:3]
	s_and_b32 exec_lo, exec_lo, vcc_lo
	s_cbranch_execz .LBB22_17
; %bb.2:
	s_load_b128 s[4:7], s[0:1], 0x30
	v_lshlrev_b64_e32 v[10:11], 2, v[0:1]
	s_wait_kmcnt 0x0
	v_lshl_add_u64 v[6:7], v[4:5], 3, s[4:5]
	global_load_b64 v[8:9], v[6:7], off
	s_clause 0x2
	s_load_b96 s[8:10], s[0:1], 0x20
	s_load_b96 s[12:14], s[0:1], 0x40
	s_load_b128 s[16:19], s[0:1], 0x10
	v_lshlrev_b64_e32 v[6:7], 3, v[0:1]
	s_wait_xcnt 0x0
	s_mov_b32 s1, 0
	s_wait_kmcnt 0x0
	s_bitcmp1_b32 s9, 0
	s_cselect_b32 s0, -1, 0
	s_delay_alu instid0(SALU_CYCLE_1)
	s_xor_b32 s2, s0, -1
	s_cmp_lg_u32 s10, 1
	s_mov_b32 s0, s8
	s_cselect_b32 s3, -1, 0
	s_lshl_b64 s[4:5], s[0:1], 3
	s_lshl_b64 s[10:11], s[0:1], 2
	v_sub_nc_u64_e64 v[6:7], v[6:7], s[4:5]
	v_sub_nc_u64_e64 v[12:13], v[10:11], s[10:11]
	s_mov_b32 s5, s1
	s_mov_b32 s4, s14
	v_sub_nc_u64_e64 v[2:3], v[2:3], s[0:1]
	v_sub_nc_u64_e64 v[0:1], v[0:1], s[0:1]
	s_delay_alu instid0(VALU_DEP_4)
	v_add_nc_u64_e32 v[6:7], s[18:19], v[6:7]
	s_wait_loadcnt 0x0
	v_sub_nc_u64_e64 v[10:11], v[8:9], s[4:5]
	v_add_nc_u64_e32 v[8:9], s[16:17], v[12:13]
	s_branch .LBB22_4
.LBB22_3:                               ;   in Loop: Header=BB22_4 Depth=1
	s_wait_xcnt 0x0
	s_or_b32 exec_lo, exec_lo, s4
	v_add_nc_u64_e32 v[0:1], 1, v[0:1]
	v_add_nc_u64_e32 v[6:7], 8, v[6:7]
	;; [unrolled: 1-line block ×3, first 2 shown]
	s_delay_alu instid0(VALU_DEP_3) | instskip(SKIP_1) | instid1(SALU_CYCLE_1)
	v_cmp_ge_i64_e32 vcc_lo, v[0:1], v[2:3]
	s_or_b32 s1, vcc_lo, s1
	s_and_not1_b32 exec_lo, exec_lo, s1
	s_cbranch_execz .LBB22_17
.LBB22_4:                               ; =>This Inner Loop Header: Depth=1
	global_load_b32 v5, v[8:9], off
	s_and_b32 vcc_lo, exec_lo, s2
	s_mov_b32 s4, -1
                                        ; implicit-def: $sgpr0
	s_wait_loadcnt 0x0
	v_subrev_nc_u32_e32 v5, s8, v5
	s_cbranch_vccz .LBB22_10
; %bb.5:                                ;   in Loop: Header=BB22_4 Depth=1
	s_and_b32 vcc_lo, exec_lo, s3
                                        ; implicit-def: $sgpr0
	s_cbranch_vccz .LBB22_7
; %bb.6:                                ;   in Loop: Header=BB22_4 Depth=1
	s_delay_alu instid0(VALU_DEP_1)
	v_cmp_le_i32_e64 s0, v4, v5
	s_mov_b32 s4, 0
.LBB22_7:                               ;   in Loop: Header=BB22_4 Depth=1
	s_delay_alu instid0(SALU_CYCLE_1)
	s_and_not1_b32 vcc_lo, exec_lo, s4
	s_cbranch_vccnz .LBB22_9
; %bb.8:                                ;   in Loop: Header=BB22_4 Depth=1
	v_cmp_lt_i32_e32 vcc_lo, v4, v5
	s_and_not1_b32 s0, s0, exec_lo
	s_and_b32 s4, vcc_lo, exec_lo
	s_delay_alu instid0(SALU_CYCLE_1)
	s_or_b32 s0, s0, s4
.LBB22_9:                               ;   in Loop: Header=BB22_4 Depth=1
	s_mov_b32 s4, 0
.LBB22_10:                              ;   in Loop: Header=BB22_4 Depth=1
	s_delay_alu instid0(SALU_CYCLE_1)
	s_and_not1_b32 vcc_lo, exec_lo, s4
	s_cbranch_vccnz .LBB22_15
; %bb.11:                               ;   in Loop: Header=BB22_4 Depth=1
	s_and_b32 vcc_lo, exec_lo, s3
	s_mov_b32 s4, -1
                                        ; implicit-def: $sgpr0
	s_cbranch_vccz .LBB22_13
; %bb.12:                               ;   in Loop: Header=BB22_4 Depth=1
	v_cmp_ge_i32_e64 s0, v4, v5
	s_mov_b32 s4, 0
.LBB22_13:                              ;   in Loop: Header=BB22_4 Depth=1
	s_delay_alu instid0(SALU_CYCLE_1)
	s_and_not1_b32 vcc_lo, exec_lo, s4
	s_cbranch_vccnz .LBB22_15
; %bb.14:                               ;   in Loop: Header=BB22_4 Depth=1
	v_cmp_gt_i32_e32 vcc_lo, v4, v5
	s_and_not1_b32 s0, s0, exec_lo
	s_and_b32 s4, vcc_lo, exec_lo
	s_delay_alu instid0(SALU_CYCLE_1)
	s_or_b32 s0, s0, s4
.LBB22_15:                              ;   in Loop: Header=BB22_4 Depth=1
	s_wait_xcnt 0x0
	s_and_saveexec_b32 s4, s0
	s_cbranch_execz .LBB22_3
; %bb.16:                               ;   in Loop: Header=BB22_4 Depth=1
	global_load_b64 v[12:13], v[6:7], off
	v_add_nc_u64_e32 v[14:15], 1, v[10:11]
	v_lshl_add_u64 v[16:17], v[10:11], 2, s[6:7]
	v_lshl_add_u64 v[18:19], v[10:11], 3, s[12:13]
	v_add_nc_u32_e32 v5, s14, v5
	global_store_b32 v[16:17], v5, off
	s_wait_loadcnt 0x0
	global_store_b64 v[18:19], v[12:13], off
	v_mov_b64_e32 v[10:11], v[14:15]
	s_branch .LBB22_3
.LBB22_17:
	s_endpgm
	.section	.rodata,"a",@progbits
	.p2align	6, 0x0
	.amdhsa_kernel _ZN9rocsparseL28internal_extract_fill_kernelILj1024EdliEEvT2_PKT1_PKS1_PKT0_21rocsparse_index_base_b20rocsparse_diag_type_S4_PS1_PS7_SA_
		.amdhsa_group_segment_fixed_size 0
		.amdhsa_private_segment_fixed_size 0
		.amdhsa_kernarg_size 336
		.amdhsa_user_sgpr_count 2
		.amdhsa_user_sgpr_dispatch_ptr 0
		.amdhsa_user_sgpr_queue_ptr 0
		.amdhsa_user_sgpr_kernarg_segment_ptr 1
		.amdhsa_user_sgpr_dispatch_id 0
		.amdhsa_user_sgpr_kernarg_preload_length 0
		.amdhsa_user_sgpr_kernarg_preload_offset 0
		.amdhsa_user_sgpr_private_segment_size 0
		.amdhsa_wavefront_size32 1
		.amdhsa_uses_dynamic_stack 0
		.amdhsa_enable_private_segment 0
		.amdhsa_system_sgpr_workgroup_id_x 1
		.amdhsa_system_sgpr_workgroup_id_y 0
		.amdhsa_system_sgpr_workgroup_id_z 0
		.amdhsa_system_sgpr_workgroup_info 0
		.amdhsa_system_vgpr_workitem_id 0
		.amdhsa_next_free_vgpr 20
		.amdhsa_next_free_sgpr 20
		.amdhsa_named_barrier_count 0
		.amdhsa_reserve_vcc 1
		.amdhsa_float_round_mode_32 0
		.amdhsa_float_round_mode_16_64 0
		.amdhsa_float_denorm_mode_32 3
		.amdhsa_float_denorm_mode_16_64 3
		.amdhsa_fp16_overflow 0
		.amdhsa_memory_ordered 1
		.amdhsa_forward_progress 1
		.amdhsa_inst_pref_size 5
		.amdhsa_round_robin_scheduling 0
		.amdhsa_exception_fp_ieee_invalid_op 0
		.amdhsa_exception_fp_denorm_src 0
		.amdhsa_exception_fp_ieee_div_zero 0
		.amdhsa_exception_fp_ieee_overflow 0
		.amdhsa_exception_fp_ieee_underflow 0
		.amdhsa_exception_fp_ieee_inexact 0
		.amdhsa_exception_int_div_zero 0
	.end_amdhsa_kernel
	.section	.text._ZN9rocsparseL28internal_extract_fill_kernelILj1024EdliEEvT2_PKT1_PKS1_PKT0_21rocsparse_index_base_b20rocsparse_diag_type_S4_PS1_PS7_SA_,"axG",@progbits,_ZN9rocsparseL28internal_extract_fill_kernelILj1024EdliEEvT2_PKT1_PKS1_PKT0_21rocsparse_index_base_b20rocsparse_diag_type_S4_PS1_PS7_SA_,comdat
.Lfunc_end22:
	.size	_ZN9rocsparseL28internal_extract_fill_kernelILj1024EdliEEvT2_PKT1_PKS1_PKT0_21rocsparse_index_base_b20rocsparse_diag_type_S4_PS1_PS7_SA_, .Lfunc_end22-_ZN9rocsparseL28internal_extract_fill_kernelILj1024EdliEEvT2_PKT1_PKS1_PKT0_21rocsparse_index_base_b20rocsparse_diag_type_S4_PS1_PS7_SA_
                                        ; -- End function
	.set _ZN9rocsparseL28internal_extract_fill_kernelILj1024EdliEEvT2_PKT1_PKS1_PKT0_21rocsparse_index_base_b20rocsparse_diag_type_S4_PS1_PS7_SA_.num_vgpr, 20
	.set _ZN9rocsparseL28internal_extract_fill_kernelILj1024EdliEEvT2_PKT1_PKS1_PKT0_21rocsparse_index_base_b20rocsparse_diag_type_S4_PS1_PS7_SA_.num_agpr, 0
	.set _ZN9rocsparseL28internal_extract_fill_kernelILj1024EdliEEvT2_PKT1_PKS1_PKT0_21rocsparse_index_base_b20rocsparse_diag_type_S4_PS1_PS7_SA_.numbered_sgpr, 20
	.set _ZN9rocsparseL28internal_extract_fill_kernelILj1024EdliEEvT2_PKT1_PKS1_PKT0_21rocsparse_index_base_b20rocsparse_diag_type_S4_PS1_PS7_SA_.num_named_barrier, 0
	.set _ZN9rocsparseL28internal_extract_fill_kernelILj1024EdliEEvT2_PKT1_PKS1_PKT0_21rocsparse_index_base_b20rocsparse_diag_type_S4_PS1_PS7_SA_.private_seg_size, 0
	.set _ZN9rocsparseL28internal_extract_fill_kernelILj1024EdliEEvT2_PKT1_PKS1_PKT0_21rocsparse_index_base_b20rocsparse_diag_type_S4_PS1_PS7_SA_.uses_vcc, 1
	.set _ZN9rocsparseL28internal_extract_fill_kernelILj1024EdliEEvT2_PKT1_PKS1_PKT0_21rocsparse_index_base_b20rocsparse_diag_type_S4_PS1_PS7_SA_.uses_flat_scratch, 0
	.set _ZN9rocsparseL28internal_extract_fill_kernelILj1024EdliEEvT2_PKT1_PKS1_PKT0_21rocsparse_index_base_b20rocsparse_diag_type_S4_PS1_PS7_SA_.has_dyn_sized_stack, 0
	.set _ZN9rocsparseL28internal_extract_fill_kernelILj1024EdliEEvT2_PKT1_PKS1_PKT0_21rocsparse_index_base_b20rocsparse_diag_type_S4_PS1_PS7_SA_.has_recursion, 0
	.set _ZN9rocsparseL28internal_extract_fill_kernelILj1024EdliEEvT2_PKT1_PKS1_PKT0_21rocsparse_index_base_b20rocsparse_diag_type_S4_PS1_PS7_SA_.has_indirect_call, 0
	.section	.AMDGPU.csdata,"",@progbits
; Kernel info:
; codeLenInByte = 620
; TotalNumSgprs: 22
; NumVgprs: 20
; ScratchSize: 0
; MemoryBound: 0
; FloatMode: 240
; IeeeMode: 1
; LDSByteSize: 0 bytes/workgroup (compile time only)
; SGPRBlocks: 0
; VGPRBlocks: 1
; NumSGPRsForWavesPerEU: 22
; NumVGPRsForWavesPerEU: 20
; NamedBarCnt: 0
; Occupancy: 16
; WaveLimiterHint : 0
; COMPUTE_PGM_RSRC2:SCRATCH_EN: 0
; COMPUTE_PGM_RSRC2:USER_SGPR: 2
; COMPUTE_PGM_RSRC2:TRAP_HANDLER: 0
; COMPUTE_PGM_RSRC2:TGID_X_EN: 1
; COMPUTE_PGM_RSRC2:TGID_Y_EN: 0
; COMPUTE_PGM_RSRC2:TGID_Z_EN: 0
; COMPUTE_PGM_RSRC2:TIDIG_COMP_CNT: 0
	.section	.text._ZN9rocsparseL28internal_extract_fill_kernelILj1024EdllEEvT2_PKT1_PKS1_PKT0_21rocsparse_index_base_b20rocsparse_diag_type_S4_PS1_PS7_SA_,"axG",@progbits,_ZN9rocsparseL28internal_extract_fill_kernelILj1024EdllEEvT2_PKT1_PKS1_PKT0_21rocsparse_index_base_b20rocsparse_diag_type_S4_PS1_PS7_SA_,comdat
	.globl	_ZN9rocsparseL28internal_extract_fill_kernelILj1024EdllEEvT2_PKT1_PKS1_PKT0_21rocsparse_index_base_b20rocsparse_diag_type_S4_PS1_PS7_SA_ ; -- Begin function _ZN9rocsparseL28internal_extract_fill_kernelILj1024EdllEEvT2_PKT1_PKS1_PKT0_21rocsparse_index_base_b20rocsparse_diag_type_S4_PS1_PS7_SA_
	.p2align	8
	.type	_ZN9rocsparseL28internal_extract_fill_kernelILj1024EdllEEvT2_PKT1_PKS1_PKT0_21rocsparse_index_base_b20rocsparse_diag_type_S4_PS1_PS7_SA_,@function
_ZN9rocsparseL28internal_extract_fill_kernelILj1024EdllEEvT2_PKT1_PKS1_PKT0_21rocsparse_index_base_b20rocsparse_diag_type_S4_PS1_PS7_SA_: ; @_ZN9rocsparseL28internal_extract_fill_kernelILj1024EdllEEvT2_PKT1_PKS1_PKT0_21rocsparse_index_base_b20rocsparse_diag_type_S4_PS1_PS7_SA_
; %bb.0:
	s_clause 0x1
	s_load_b32 s4, s[0:1], 0x5c
	s_load_b64 s[2:3], s[0:1], 0x0
	s_bfe_u32 s5, ttmp6, 0x4000c
	s_and_b32 s6, ttmp6, 15
	s_add_co_i32 s5, s5, 1
	s_getreg_b32 s7, hwreg(HW_REG_IB_STS2, 6, 4)
	s_mul_i32 s5, ttmp9, s5
	v_mov_b32_e32 v5, 0
	s_add_co_i32 s6, s6, s5
	s_wait_kmcnt 0x0
	s_and_b32 s4, s4, 0xffff
	s_cmp_eq_u32 s7, 0
	s_cselect_b32 s5, ttmp9, s6
	s_delay_alu instid0(SALU_CYCLE_1) | instskip(NEXT) | instid1(VALU_DEP_1)
	v_mad_u32 v4, s5, s4, v0
	v_cmp_gt_i64_e32 vcc_lo, s[2:3], v[4:5]
	s_and_saveexec_b32 s2, vcc_lo
	s_cbranch_execz .LBB23_17
; %bb.1:
	s_load_b64 s[2:3], s[0:1], 0x8
	s_wait_kmcnt 0x0
	v_lshl_add_u64 v[0:1], v[4:5], 3, s[2:3]
	global_load_b128 v[0:3], v[0:1], off
	s_wait_loadcnt 0x0
	v_cmp_lt_i64_e32 vcc_lo, v[0:1], v[2:3]
	s_and_b32 exec_lo, exec_lo, vcc_lo
	s_cbranch_execz .LBB23_17
; %bb.2:
	s_load_b128 s[4:7], s[0:1], 0x30
	s_wait_kmcnt 0x0
	v_lshl_add_u64 v[6:7], v[4:5], 3, s[4:5]
	global_load_b64 v[8:9], v[6:7], off
	s_clause 0x2
	s_load_b96 s[16:18], s[0:1], 0x20
	s_load_b96 s[8:10], s[0:1], 0x40
	s_load_b128 s[12:15], s[0:1], 0x10
	v_lshlrev_b64_e32 v[6:7], 3, v[0:1]
	s_wait_xcnt 0x0
	s_mov_b32 s1, 0
	s_delay_alu instid0(SALU_CYCLE_1)
	s_mov_b32 s3, s1
	s_wait_kmcnt 0x0
	s_bitcmp1_b32 s17, 0
	s_mov_b32 s2, s16
	s_cselect_b32 s0, -1, 0
	v_sub_nc_u64_e64 v[2:3], v[2:3], s[2:3]
	s_xor_b32 s4, s0, -1
	s_cmp_lg_u32 s18, 1
	s_mov_b32 s0, s10
	s_cselect_b32 s5, -1, 0
	s_lshl_b64 s[16:17], s[2:3], 3
	v_sub_nc_u64_e64 v[0:1], v[0:1], s[2:3]
	v_sub_nc_u64_e64 v[12:13], v[6:7], s[16:17]
	s_mov_b32 s10, s1
	s_delay_alu instid0(VALU_DEP_1)
	v_add_nc_u64_e32 v[6:7], s[14:15], v[12:13]
	s_wait_loadcnt 0x0
	v_sub_nc_u64_e64 v[10:11], v[8:9], s[0:1]
	v_add_nc_u64_e32 v[8:9], s[12:13], v[12:13]
	s_branch .LBB23_4
.LBB23_3:                               ;   in Loop: Header=BB23_4 Depth=1
	s_wait_xcnt 0x0
	s_or_b32 exec_lo, exec_lo, s12
	v_add_nc_u64_e32 v[0:1], 1, v[0:1]
	v_add_nc_u64_e32 v[6:7], 8, v[6:7]
	;; [unrolled: 1-line block ×3, first 2 shown]
	s_delay_alu instid0(VALU_DEP_3) | instskip(SKIP_1) | instid1(SALU_CYCLE_1)
	v_cmp_ge_i64_e32 vcc_lo, v[0:1], v[2:3]
	s_or_b32 s10, vcc_lo, s10
	s_and_not1_b32 exec_lo, exec_lo, s10
	s_cbranch_execz .LBB23_17
.LBB23_4:                               ; =>This Inner Loop Header: Depth=1
	global_load_b64 v[12:13], v[8:9], off
	s_and_b32 vcc_lo, exec_lo, s4
	s_mov_b32 s12, -1
                                        ; implicit-def: $sgpr11
	s_wait_loadcnt 0x0
	v_sub_nc_u64_e64 v[12:13], v[12:13], s[2:3]
	s_cbranch_vccz .LBB23_10
; %bb.5:                                ;   in Loop: Header=BB23_4 Depth=1
	s_and_b32 vcc_lo, exec_lo, s5
                                        ; implicit-def: $sgpr11
	s_cbranch_vccz .LBB23_7
; %bb.6:                                ;   in Loop: Header=BB23_4 Depth=1
	s_delay_alu instid0(VALU_DEP_1)
	v_cmp_ge_i64_e64 s11, v[12:13], v[4:5]
	s_mov_b32 s12, 0
.LBB23_7:                               ;   in Loop: Header=BB23_4 Depth=1
	s_delay_alu instid0(SALU_CYCLE_1)
	s_and_not1_b32 vcc_lo, exec_lo, s12
	s_cbranch_vccnz .LBB23_9
; %bb.8:                                ;   in Loop: Header=BB23_4 Depth=1
	s_delay_alu instid0(VALU_DEP_1) | instskip(SKIP_2) | instid1(SALU_CYCLE_1)
	v_cmp_gt_i64_e32 vcc_lo, v[12:13], v[4:5]
	s_and_not1_b32 s11, s11, exec_lo
	s_and_b32 s12, vcc_lo, exec_lo
	s_or_b32 s11, s11, s12
.LBB23_9:                               ;   in Loop: Header=BB23_4 Depth=1
	s_mov_b32 s12, 0
.LBB23_10:                              ;   in Loop: Header=BB23_4 Depth=1
	s_delay_alu instid0(SALU_CYCLE_1)
	s_and_not1_b32 vcc_lo, exec_lo, s12
	s_cbranch_vccnz .LBB23_15
; %bb.11:                               ;   in Loop: Header=BB23_4 Depth=1
	s_and_b32 vcc_lo, exec_lo, s5
	s_mov_b32 s12, -1
                                        ; implicit-def: $sgpr11
	s_cbranch_vccz .LBB23_13
; %bb.12:                               ;   in Loop: Header=BB23_4 Depth=1
	v_cmp_le_i64_e64 s11, v[12:13], v[4:5]
	s_mov_b32 s12, 0
.LBB23_13:                              ;   in Loop: Header=BB23_4 Depth=1
	s_delay_alu instid0(SALU_CYCLE_1)
	s_and_not1_b32 vcc_lo, exec_lo, s12
	s_cbranch_vccnz .LBB23_15
; %bb.14:                               ;   in Loop: Header=BB23_4 Depth=1
	v_cmp_lt_i64_e32 vcc_lo, v[12:13], v[4:5]
	s_and_not1_b32 s11, s11, exec_lo
	s_and_b32 s12, vcc_lo, exec_lo
	s_delay_alu instid0(SALU_CYCLE_1)
	s_or_b32 s11, s11, s12
.LBB23_15:                              ;   in Loop: Header=BB23_4 Depth=1
	s_wait_xcnt 0x0
	s_and_saveexec_b32 s12, s11
	s_cbranch_execz .LBB23_3
; %bb.16:                               ;   in Loop: Header=BB23_4 Depth=1
	global_load_b64 v[14:15], v[6:7], off
	v_lshlrev_b64_e32 v[16:17], 3, v[10:11]
	v_add_nc_u64_e32 v[10:11], 1, v[10:11]
	v_add_nc_u64_e32 v[12:13], s[0:1], v[12:13]
	s_delay_alu instid0(VALU_DEP_3)
	v_add_nc_u64_e32 v[18:19], s[6:7], v[16:17]
	v_add_nc_u64_e32 v[16:17], s[8:9], v[16:17]
	global_store_b64 v[18:19], v[12:13], off
	s_wait_loadcnt 0x0
	global_store_b64 v[16:17], v[14:15], off
	s_branch .LBB23_3
.LBB23_17:
	s_endpgm
	.section	.rodata,"a",@progbits
	.p2align	6, 0x0
	.amdhsa_kernel _ZN9rocsparseL28internal_extract_fill_kernelILj1024EdllEEvT2_PKT1_PKS1_PKT0_21rocsparse_index_base_b20rocsparse_diag_type_S4_PS1_PS7_SA_
		.amdhsa_group_segment_fixed_size 0
		.amdhsa_private_segment_fixed_size 0
		.amdhsa_kernarg_size 336
		.amdhsa_user_sgpr_count 2
		.amdhsa_user_sgpr_dispatch_ptr 0
		.amdhsa_user_sgpr_queue_ptr 0
		.amdhsa_user_sgpr_kernarg_segment_ptr 1
		.amdhsa_user_sgpr_dispatch_id 0
		.amdhsa_user_sgpr_kernarg_preload_length 0
		.amdhsa_user_sgpr_kernarg_preload_offset 0
		.amdhsa_user_sgpr_private_segment_size 0
		.amdhsa_wavefront_size32 1
		.amdhsa_uses_dynamic_stack 0
		.amdhsa_enable_private_segment 0
		.amdhsa_system_sgpr_workgroup_id_x 1
		.amdhsa_system_sgpr_workgroup_id_y 0
		.amdhsa_system_sgpr_workgroup_id_z 0
		.amdhsa_system_sgpr_workgroup_info 0
		.amdhsa_system_vgpr_workitem_id 0
		.amdhsa_next_free_vgpr 20
		.amdhsa_next_free_sgpr 19
		.amdhsa_named_barrier_count 0
		.amdhsa_reserve_vcc 1
		.amdhsa_float_round_mode_32 0
		.amdhsa_float_round_mode_16_64 0
		.amdhsa_float_denorm_mode_32 3
		.amdhsa_float_denorm_mode_16_64 3
		.amdhsa_fp16_overflow 0
		.amdhsa_memory_ordered 1
		.amdhsa_forward_progress 1
		.amdhsa_inst_pref_size 5
		.amdhsa_round_robin_scheduling 0
		.amdhsa_exception_fp_ieee_invalid_op 0
		.amdhsa_exception_fp_denorm_src 0
		.amdhsa_exception_fp_ieee_div_zero 0
		.amdhsa_exception_fp_ieee_overflow 0
		.amdhsa_exception_fp_ieee_underflow 0
		.amdhsa_exception_fp_ieee_inexact 0
		.amdhsa_exception_int_div_zero 0
	.end_amdhsa_kernel
	.section	.text._ZN9rocsparseL28internal_extract_fill_kernelILj1024EdllEEvT2_PKT1_PKS1_PKT0_21rocsparse_index_base_b20rocsparse_diag_type_S4_PS1_PS7_SA_,"axG",@progbits,_ZN9rocsparseL28internal_extract_fill_kernelILj1024EdllEEvT2_PKT1_PKS1_PKT0_21rocsparse_index_base_b20rocsparse_diag_type_S4_PS1_PS7_SA_,comdat
.Lfunc_end23:
	.size	_ZN9rocsparseL28internal_extract_fill_kernelILj1024EdllEEvT2_PKT1_PKS1_PKT0_21rocsparse_index_base_b20rocsparse_diag_type_S4_PS1_PS7_SA_, .Lfunc_end23-_ZN9rocsparseL28internal_extract_fill_kernelILj1024EdllEEvT2_PKT1_PKS1_PKT0_21rocsparse_index_base_b20rocsparse_diag_type_S4_PS1_PS7_SA_
                                        ; -- End function
	.set _ZN9rocsparseL28internal_extract_fill_kernelILj1024EdllEEvT2_PKT1_PKS1_PKT0_21rocsparse_index_base_b20rocsparse_diag_type_S4_PS1_PS7_SA_.num_vgpr, 20
	.set _ZN9rocsparseL28internal_extract_fill_kernelILj1024EdllEEvT2_PKT1_PKS1_PKT0_21rocsparse_index_base_b20rocsparse_diag_type_S4_PS1_PS7_SA_.num_agpr, 0
	.set _ZN9rocsparseL28internal_extract_fill_kernelILj1024EdllEEvT2_PKT1_PKS1_PKT0_21rocsparse_index_base_b20rocsparse_diag_type_S4_PS1_PS7_SA_.numbered_sgpr, 19
	.set _ZN9rocsparseL28internal_extract_fill_kernelILj1024EdllEEvT2_PKT1_PKS1_PKT0_21rocsparse_index_base_b20rocsparse_diag_type_S4_PS1_PS7_SA_.num_named_barrier, 0
	.set _ZN9rocsparseL28internal_extract_fill_kernelILj1024EdllEEvT2_PKT1_PKS1_PKT0_21rocsparse_index_base_b20rocsparse_diag_type_S4_PS1_PS7_SA_.private_seg_size, 0
	.set _ZN9rocsparseL28internal_extract_fill_kernelILj1024EdllEEvT2_PKT1_PKS1_PKT0_21rocsparse_index_base_b20rocsparse_diag_type_S4_PS1_PS7_SA_.uses_vcc, 1
	.set _ZN9rocsparseL28internal_extract_fill_kernelILj1024EdllEEvT2_PKT1_PKS1_PKT0_21rocsparse_index_base_b20rocsparse_diag_type_S4_PS1_PS7_SA_.uses_flat_scratch, 0
	.set _ZN9rocsparseL28internal_extract_fill_kernelILj1024EdllEEvT2_PKT1_PKS1_PKT0_21rocsparse_index_base_b20rocsparse_diag_type_S4_PS1_PS7_SA_.has_dyn_sized_stack, 0
	.set _ZN9rocsparseL28internal_extract_fill_kernelILj1024EdllEEvT2_PKT1_PKS1_PKT0_21rocsparse_index_base_b20rocsparse_diag_type_S4_PS1_PS7_SA_.has_recursion, 0
	.set _ZN9rocsparseL28internal_extract_fill_kernelILj1024EdllEEvT2_PKT1_PKS1_PKT0_21rocsparse_index_base_b20rocsparse_diag_type_S4_PS1_PS7_SA_.has_indirect_call, 0
	.section	.AMDGPU.csdata,"",@progbits
; Kernel info:
; codeLenInByte = 604
; TotalNumSgprs: 21
; NumVgprs: 20
; ScratchSize: 0
; MemoryBound: 0
; FloatMode: 240
; IeeeMode: 1
; LDSByteSize: 0 bytes/workgroup (compile time only)
; SGPRBlocks: 0
; VGPRBlocks: 1
; NumSGPRsForWavesPerEU: 21
; NumVGPRsForWavesPerEU: 20
; NamedBarCnt: 0
; Occupancy: 16
; WaveLimiterHint : 0
; COMPUTE_PGM_RSRC2:SCRATCH_EN: 0
; COMPUTE_PGM_RSRC2:USER_SGPR: 2
; COMPUTE_PGM_RSRC2:TRAP_HANDLER: 0
; COMPUTE_PGM_RSRC2:TGID_X_EN: 1
; COMPUTE_PGM_RSRC2:TGID_Y_EN: 0
; COMPUTE_PGM_RSRC2:TGID_Z_EN: 0
; COMPUTE_PGM_RSRC2:TIDIG_COMP_CNT: 0
	.section	.text._ZN9rocsparseL28internal_extract_fill_kernelILj1024E21rocsparse_complex_numIfEiiEEvT2_PKT1_PKS3_PKT0_21rocsparse_index_base_b20rocsparse_diag_type_S6_PS3_PS9_SC_,"axG",@progbits,_ZN9rocsparseL28internal_extract_fill_kernelILj1024E21rocsparse_complex_numIfEiiEEvT2_PKT1_PKS3_PKT0_21rocsparse_index_base_b20rocsparse_diag_type_S6_PS3_PS9_SC_,comdat
	.globl	_ZN9rocsparseL28internal_extract_fill_kernelILj1024E21rocsparse_complex_numIfEiiEEvT2_PKT1_PKS3_PKT0_21rocsparse_index_base_b20rocsparse_diag_type_S6_PS3_PS9_SC_ ; -- Begin function _ZN9rocsparseL28internal_extract_fill_kernelILj1024E21rocsparse_complex_numIfEiiEEvT2_PKT1_PKS3_PKT0_21rocsparse_index_base_b20rocsparse_diag_type_S6_PS3_PS9_SC_
	.p2align	8
	.type	_ZN9rocsparseL28internal_extract_fill_kernelILj1024E21rocsparse_complex_numIfEiiEEvT2_PKT1_PKS3_PKT0_21rocsparse_index_base_b20rocsparse_diag_type_S6_PS3_PS9_SC_,@function
_ZN9rocsparseL28internal_extract_fill_kernelILj1024E21rocsparse_complex_numIfEiiEEvT2_PKT1_PKS3_PKT0_21rocsparse_index_base_b20rocsparse_diag_type_S6_PS3_PS9_SC_: ; @_ZN9rocsparseL28internal_extract_fill_kernelILj1024E21rocsparse_complex_numIfEiiEEvT2_PKT1_PKS3_PKT0_21rocsparse_index_base_b20rocsparse_diag_type_S6_PS3_PS9_SC_
; %bb.0:
	s_clause 0x1
	s_load_b32 s2, s[0:1], 0x5c
	s_load_b32 s3, s[0:1], 0x0
	s_bfe_u32 s4, ttmp6, 0x4000c
	s_and_b32 s5, ttmp6, 15
	s_add_co_i32 s4, s4, 1
	s_getreg_b32 s6, hwreg(HW_REG_IB_STS2, 6, 4)
	s_mul_i32 s4, ttmp9, s4
	s_delay_alu instid0(SALU_CYCLE_1) | instskip(SKIP_4) | instid1(SALU_CYCLE_1)
	s_add_co_i32 s5, s5, s4
	s_wait_kmcnt 0x0
	s_and_b32 s2, s2, 0xffff
	s_cmp_eq_u32 s6, 0
	s_cselect_b32 s4, ttmp9, s5
	v_mad_u32 v0, s4, s2, v0
	s_mov_b32 s2, exec_lo
	s_delay_alu instid0(VALU_DEP_1)
	v_cmpx_gt_i32_e64 s3, v0
	s_cbranch_execz .LBB24_17
; %bb.1:
	s_load_b64 s[2:3], s[0:1], 0x8
	v_ashrrev_i32_e32 v1, 31, v0
	s_wait_kmcnt 0x0
	s_delay_alu instid0(VALU_DEP_1)
	v_lshl_add_u64 v[2:3], v[0:1], 2, s[2:3]
	global_load_b64 v[4:5], v[2:3], off
	s_wait_loadcnt 0x0
	v_cmp_lt_i32_e32 vcc_lo, v4, v5
	s_and_b32 exec_lo, exec_lo, vcc_lo
	s_cbranch_execz .LBB24_17
; %bb.2:
	s_load_b128 s[4:7], s[0:1], 0x30
	s_mov_b32 s2, 0
	s_wait_kmcnt 0x0
	v_lshl_add_u64 v[2:3], v[0:1], 2, s[4:5]
	global_load_b32 v6, v[2:3], off
	s_clause 0x2
	s_load_b96 s[8:10], s[0:1], 0x20
	s_load_b128 s[16:19], s[0:1], 0x10
	s_load_b96 s[12:14], s[0:1], 0x40
	s_wait_kmcnt 0x0
	v_subrev_nc_u32_e32 v2, s8, v4
	s_bitcmp1_b32 s9, 0
	v_subrev_nc_u32_e32 v1, s8, v5
	s_cselect_b32 s0, -1, 0
	s_delay_alu instid0(VALU_DEP_2) | instskip(SKIP_3) | instid1(VALU_DEP_1)
	v_ashrrev_i32_e32 v3, 31, v2
	s_xor_b32 s0, s0, -1
	s_cmp_lg_u32 s10, 1
	s_cselect_b32 s1, -1, 0
	v_lshl_add_u64 v[4:5], v[2:3], 2, s[16:17]
	s_wait_loadcnt 0x0
	v_subrev_nc_u32_e32 v8, s14, v6
	v_lshl_add_u64 v[6:7], v[2:3], 3, s[18:19]
	s_branch .LBB24_4
.LBB24_3:                               ;   in Loop: Header=BB24_4 Depth=1
	s_or_b32 exec_lo, exec_lo, s4
	v_add_nc_u32_e32 v2, 1, v2
	v_add_nc_u64_e32 v[4:5], 4, v[4:5]
	v_add_nc_u64_e32 v[6:7], 8, v[6:7]
	s_delay_alu instid0(VALU_DEP_3) | instskip(SKIP_1) | instid1(SALU_CYCLE_1)
	v_cmp_ge_i32_e32 vcc_lo, v2, v1
	s_or_b32 s2, vcc_lo, s2
	s_and_not1_b32 exec_lo, exec_lo, s2
	s_cbranch_execz .LBB24_17
.LBB24_4:                               ; =>This Inner Loop Header: Depth=1
	global_load_b32 v3, v[4:5], off
	s_and_b32 vcc_lo, exec_lo, s0
	s_mov_b32 s4, -1
                                        ; implicit-def: $sgpr3
	s_wait_loadcnt 0x0
	v_subrev_nc_u32_e32 v3, s8, v3
	s_cbranch_vccz .LBB24_10
; %bb.5:                                ;   in Loop: Header=BB24_4 Depth=1
	s_and_b32 vcc_lo, exec_lo, s1
                                        ; implicit-def: $sgpr3
	s_cbranch_vccz .LBB24_7
; %bb.6:                                ;   in Loop: Header=BB24_4 Depth=1
	s_delay_alu instid0(VALU_DEP_1)
	v_cmp_le_i32_e64 s3, v0, v3
	s_mov_b32 s4, 0
.LBB24_7:                               ;   in Loop: Header=BB24_4 Depth=1
	s_delay_alu instid0(SALU_CYCLE_1)
	s_and_not1_b32 vcc_lo, exec_lo, s4
	s_cbranch_vccnz .LBB24_9
; %bb.8:                                ;   in Loop: Header=BB24_4 Depth=1
	v_cmp_lt_i32_e32 vcc_lo, v0, v3
	s_and_not1_b32 s3, s3, exec_lo
	s_and_b32 s4, vcc_lo, exec_lo
	s_delay_alu instid0(SALU_CYCLE_1)
	s_or_b32 s3, s3, s4
.LBB24_9:                               ;   in Loop: Header=BB24_4 Depth=1
	s_mov_b32 s4, 0
.LBB24_10:                              ;   in Loop: Header=BB24_4 Depth=1
	s_delay_alu instid0(SALU_CYCLE_1)
	s_and_not1_b32 vcc_lo, exec_lo, s4
	s_cbranch_vccnz .LBB24_15
; %bb.11:                               ;   in Loop: Header=BB24_4 Depth=1
	s_and_b32 vcc_lo, exec_lo, s1
	s_mov_b32 s4, -1
                                        ; implicit-def: $sgpr3
	s_cbranch_vccz .LBB24_13
; %bb.12:                               ;   in Loop: Header=BB24_4 Depth=1
	v_cmp_ge_i32_e64 s3, v0, v3
	s_mov_b32 s4, 0
.LBB24_13:                              ;   in Loop: Header=BB24_4 Depth=1
	s_delay_alu instid0(SALU_CYCLE_1)
	s_and_not1_b32 vcc_lo, exec_lo, s4
	s_cbranch_vccnz .LBB24_15
; %bb.14:                               ;   in Loop: Header=BB24_4 Depth=1
	v_cmp_gt_i32_e32 vcc_lo, v0, v3
	s_and_not1_b32 s3, s3, exec_lo
	s_and_b32 s4, vcc_lo, exec_lo
	s_delay_alu instid0(SALU_CYCLE_1)
	s_or_b32 s3, s3, s4
.LBB24_15:                              ;   in Loop: Header=BB24_4 Depth=1
	s_wait_xcnt 0x0
	s_and_saveexec_b32 s4, s3
	s_cbranch_execz .LBB24_3
; %bb.16:                               ;   in Loop: Header=BB24_4 Depth=1
	global_load_b64 v[10:11], v[6:7], off
	v_dual_add_nc_u32 v3, s14, v3 :: v_dual_add_nc_u32 v9, 1, v8
	global_store_b32 v8, v3, s[6:7] scale_offset
	s_wait_loadcnt 0x0
	global_store_b64 v8, v[10:11], s[12:13] scale_offset
	s_wait_xcnt 0x0
	v_mov_b32_e32 v8, v9
	s_branch .LBB24_3
.LBB24_17:
	s_endpgm
	.section	.rodata,"a",@progbits
	.p2align	6, 0x0
	.amdhsa_kernel _ZN9rocsparseL28internal_extract_fill_kernelILj1024E21rocsparse_complex_numIfEiiEEvT2_PKT1_PKS3_PKT0_21rocsparse_index_base_b20rocsparse_diag_type_S6_PS3_PS9_SC_
		.amdhsa_group_segment_fixed_size 0
		.amdhsa_private_segment_fixed_size 0
		.amdhsa_kernarg_size 336
		.amdhsa_user_sgpr_count 2
		.amdhsa_user_sgpr_dispatch_ptr 0
		.amdhsa_user_sgpr_queue_ptr 0
		.amdhsa_user_sgpr_kernarg_segment_ptr 1
		.amdhsa_user_sgpr_dispatch_id 0
		.amdhsa_user_sgpr_kernarg_preload_length 0
		.amdhsa_user_sgpr_kernarg_preload_offset 0
		.amdhsa_user_sgpr_private_segment_size 0
		.amdhsa_wavefront_size32 1
		.amdhsa_uses_dynamic_stack 0
		.amdhsa_enable_private_segment 0
		.amdhsa_system_sgpr_workgroup_id_x 1
		.amdhsa_system_sgpr_workgroup_id_y 0
		.amdhsa_system_sgpr_workgroup_id_z 0
		.amdhsa_system_sgpr_workgroup_info 0
		.amdhsa_system_vgpr_workitem_id 0
		.amdhsa_next_free_vgpr 12
		.amdhsa_next_free_sgpr 20
		.amdhsa_named_barrier_count 0
		.amdhsa_reserve_vcc 1
		.amdhsa_float_round_mode_32 0
		.amdhsa_float_round_mode_16_64 0
		.amdhsa_float_denorm_mode_32 3
		.amdhsa_float_denorm_mode_16_64 3
		.amdhsa_fp16_overflow 0
		.amdhsa_memory_ordered 1
		.amdhsa_forward_progress 1
		.amdhsa_inst_pref_size 5
		.amdhsa_round_robin_scheduling 0
		.amdhsa_exception_fp_ieee_invalid_op 0
		.amdhsa_exception_fp_denorm_src 0
		.amdhsa_exception_fp_ieee_div_zero 0
		.amdhsa_exception_fp_ieee_overflow 0
		.amdhsa_exception_fp_ieee_underflow 0
		.amdhsa_exception_fp_ieee_inexact 0
		.amdhsa_exception_int_div_zero 0
	.end_amdhsa_kernel
	.section	.text._ZN9rocsparseL28internal_extract_fill_kernelILj1024E21rocsparse_complex_numIfEiiEEvT2_PKT1_PKS3_PKT0_21rocsparse_index_base_b20rocsparse_diag_type_S6_PS3_PS9_SC_,"axG",@progbits,_ZN9rocsparseL28internal_extract_fill_kernelILj1024E21rocsparse_complex_numIfEiiEEvT2_PKT1_PKS3_PKT0_21rocsparse_index_base_b20rocsparse_diag_type_S6_PS3_PS9_SC_,comdat
.Lfunc_end24:
	.size	_ZN9rocsparseL28internal_extract_fill_kernelILj1024E21rocsparse_complex_numIfEiiEEvT2_PKT1_PKS3_PKT0_21rocsparse_index_base_b20rocsparse_diag_type_S6_PS3_PS9_SC_, .Lfunc_end24-_ZN9rocsparseL28internal_extract_fill_kernelILj1024E21rocsparse_complex_numIfEiiEEvT2_PKT1_PKS3_PKT0_21rocsparse_index_base_b20rocsparse_diag_type_S6_PS3_PS9_SC_
                                        ; -- End function
	.set _ZN9rocsparseL28internal_extract_fill_kernelILj1024E21rocsparse_complex_numIfEiiEEvT2_PKT1_PKS3_PKT0_21rocsparse_index_base_b20rocsparse_diag_type_S6_PS3_PS9_SC_.num_vgpr, 12
	.set _ZN9rocsparseL28internal_extract_fill_kernelILj1024E21rocsparse_complex_numIfEiiEEvT2_PKT1_PKS3_PKT0_21rocsparse_index_base_b20rocsparse_diag_type_S6_PS3_PS9_SC_.num_agpr, 0
	.set _ZN9rocsparseL28internal_extract_fill_kernelILj1024E21rocsparse_complex_numIfEiiEEvT2_PKT1_PKS3_PKT0_21rocsparse_index_base_b20rocsparse_diag_type_S6_PS3_PS9_SC_.numbered_sgpr, 20
	.set _ZN9rocsparseL28internal_extract_fill_kernelILj1024E21rocsparse_complex_numIfEiiEEvT2_PKT1_PKS3_PKT0_21rocsparse_index_base_b20rocsparse_diag_type_S6_PS3_PS9_SC_.num_named_barrier, 0
	.set _ZN9rocsparseL28internal_extract_fill_kernelILj1024E21rocsparse_complex_numIfEiiEEvT2_PKT1_PKS3_PKT0_21rocsparse_index_base_b20rocsparse_diag_type_S6_PS3_PS9_SC_.private_seg_size, 0
	.set _ZN9rocsparseL28internal_extract_fill_kernelILj1024E21rocsparse_complex_numIfEiiEEvT2_PKT1_PKS3_PKT0_21rocsparse_index_base_b20rocsparse_diag_type_S6_PS3_PS9_SC_.uses_vcc, 1
	.set _ZN9rocsparseL28internal_extract_fill_kernelILj1024E21rocsparse_complex_numIfEiiEEvT2_PKT1_PKS3_PKT0_21rocsparse_index_base_b20rocsparse_diag_type_S6_PS3_PS9_SC_.uses_flat_scratch, 0
	.set _ZN9rocsparseL28internal_extract_fill_kernelILj1024E21rocsparse_complex_numIfEiiEEvT2_PKT1_PKS3_PKT0_21rocsparse_index_base_b20rocsparse_diag_type_S6_PS3_PS9_SC_.has_dyn_sized_stack, 0
	.set _ZN9rocsparseL28internal_extract_fill_kernelILj1024E21rocsparse_complex_numIfEiiEEvT2_PKT1_PKS3_PKT0_21rocsparse_index_base_b20rocsparse_diag_type_S6_PS3_PS9_SC_.has_recursion, 0
	.set _ZN9rocsparseL28internal_extract_fill_kernelILj1024E21rocsparse_complex_numIfEiiEEvT2_PKT1_PKS3_PKT0_21rocsparse_index_base_b20rocsparse_diag_type_S6_PS3_PS9_SC_.has_indirect_call, 0
	.section	.AMDGPU.csdata,"",@progbits
; Kernel info:
; codeLenInByte = 564
; TotalNumSgprs: 22
; NumVgprs: 12
; ScratchSize: 0
; MemoryBound: 0
; FloatMode: 240
; IeeeMode: 1
; LDSByteSize: 0 bytes/workgroup (compile time only)
; SGPRBlocks: 0
; VGPRBlocks: 0
; NumSGPRsForWavesPerEU: 22
; NumVGPRsForWavesPerEU: 12
; NamedBarCnt: 0
; Occupancy: 16
; WaveLimiterHint : 0
; COMPUTE_PGM_RSRC2:SCRATCH_EN: 0
; COMPUTE_PGM_RSRC2:USER_SGPR: 2
; COMPUTE_PGM_RSRC2:TRAP_HANDLER: 0
; COMPUTE_PGM_RSRC2:TGID_X_EN: 1
; COMPUTE_PGM_RSRC2:TGID_Y_EN: 0
; COMPUTE_PGM_RSRC2:TGID_Z_EN: 0
; COMPUTE_PGM_RSRC2:TIDIG_COMP_CNT: 0
	.section	.text._ZN9rocsparseL28internal_extract_fill_kernelILj1024E21rocsparse_complex_numIfEilEEvT2_PKT1_PKS3_PKT0_21rocsparse_index_base_b20rocsparse_diag_type_S6_PS3_PS9_SC_,"axG",@progbits,_ZN9rocsparseL28internal_extract_fill_kernelILj1024E21rocsparse_complex_numIfEilEEvT2_PKT1_PKS3_PKT0_21rocsparse_index_base_b20rocsparse_diag_type_S6_PS3_PS9_SC_,comdat
	.globl	_ZN9rocsparseL28internal_extract_fill_kernelILj1024E21rocsparse_complex_numIfEilEEvT2_PKT1_PKS3_PKT0_21rocsparse_index_base_b20rocsparse_diag_type_S6_PS3_PS9_SC_ ; -- Begin function _ZN9rocsparseL28internal_extract_fill_kernelILj1024E21rocsparse_complex_numIfEilEEvT2_PKT1_PKS3_PKT0_21rocsparse_index_base_b20rocsparse_diag_type_S6_PS3_PS9_SC_
	.p2align	8
	.type	_ZN9rocsparseL28internal_extract_fill_kernelILj1024E21rocsparse_complex_numIfEilEEvT2_PKT1_PKS3_PKT0_21rocsparse_index_base_b20rocsparse_diag_type_S6_PS3_PS9_SC_,@function
_ZN9rocsparseL28internal_extract_fill_kernelILj1024E21rocsparse_complex_numIfEilEEvT2_PKT1_PKS3_PKT0_21rocsparse_index_base_b20rocsparse_diag_type_S6_PS3_PS9_SC_: ; @_ZN9rocsparseL28internal_extract_fill_kernelILj1024E21rocsparse_complex_numIfEilEEvT2_PKT1_PKS3_PKT0_21rocsparse_index_base_b20rocsparse_diag_type_S6_PS3_PS9_SC_
; %bb.0:
	s_clause 0x1
	s_load_b32 s4, s[0:1], 0x5c
	s_load_b64 s[2:3], s[0:1], 0x0
	s_bfe_u32 s5, ttmp6, 0x4000c
	s_and_b32 s6, ttmp6, 15
	s_add_co_i32 s5, s5, 1
	s_getreg_b32 s7, hwreg(HW_REG_IB_STS2, 6, 4)
	s_mul_i32 s5, ttmp9, s5
	s_delay_alu instid0(SALU_CYCLE_1) | instskip(SKIP_4) | instid1(SALU_CYCLE_1)
	s_add_co_i32 s6, s6, s5
	s_wait_kmcnt 0x0
	s_and_b32 s4, s4, 0xffff
	s_cmp_eq_u32 s7, 0
	s_cselect_b32 s5, ttmp9, s6
	v_mad_u32 v0, s5, s4, v0
	s_delay_alu instid0(VALU_DEP_1) | instskip(NEXT) | instid1(VALU_DEP_1)
	v_ashrrev_i32_e32 v1, 31, v0
	v_cmp_gt_i64_e32 vcc_lo, s[2:3], v[0:1]
	s_and_saveexec_b32 s2, vcc_lo
	s_cbranch_execz .LBB25_17
; %bb.1:
	s_load_b64 s[2:3], s[0:1], 0x8
	s_wait_kmcnt 0x0
	v_lshl_add_u64 v[2:3], v[0:1], 2, s[2:3]
	global_load_b64 v[4:5], v[2:3], off
	s_wait_loadcnt 0x0
	v_cmp_lt_i32_e32 vcc_lo, v4, v5
	s_and_b32 exec_lo, exec_lo, vcc_lo
	s_cbranch_execz .LBB25_17
; %bb.2:
	s_load_b128 s[4:7], s[0:1], 0x30
	s_wait_kmcnt 0x0
	v_lshl_add_u64 v[2:3], v[0:1], 2, s[4:5]
	global_load_b32 v8, v[2:3], off
	s_clause 0x2
	s_load_b96 s[8:10], s[0:1], 0x20
	s_load_b96 s[12:14], s[0:1], 0x40
	s_load_b128 s[16:19], s[0:1], 0x10
	s_wait_xcnt 0x0
	s_mov_b32 s1, 0
	s_delay_alu instid0(SALU_CYCLE_1)
	s_mov_b32 s4, s1
	s_wait_kmcnt 0x0
	v_subrev_nc_u32_e32 v2, s8, v4
	s_bitcmp1_b32 s9, 0
	s_mov_b32 s0, s14
	s_cselect_b32 s2, -1, 0
	s_mov_b32 s9, s1
	v_ashrrev_i32_e32 v3, 31, v2
	s_xor_b32 s2, s2, -1
	s_cmp_lg_u32 s10, 1
	s_cselect_b32 s3, -1, 0
	s_delay_alu instid0(VALU_DEP_1) | instskip(SKIP_1) | instid1(VALU_DEP_2)
	v_lshlrev_b64_e32 v[6:7], 3, v[2:3]
	v_subrev_nc_u32_e32 v3, s8, v5
	v_add_nc_u64_e32 v[4:5], s[16:17], v[6:7]
	v_add_nc_u64_e32 v[6:7], s[18:19], v[6:7]
	s_wait_loadcnt 0x0
	v_subrev_nc_u32_e32 v10, s14, v8
	s_branch .LBB25_4
.LBB25_3:                               ;   in Loop: Header=BB25_4 Depth=1
	s_or_b32 exec_lo, exec_lo, s10
	v_add_nc_u32_e32 v2, 1, v2
	v_add_nc_u64_e32 v[4:5], 8, v[4:5]
	v_add_nc_u64_e32 v[6:7], 8, v[6:7]
	s_delay_alu instid0(VALU_DEP_3) | instskip(SKIP_1) | instid1(SALU_CYCLE_1)
	v_cmp_ge_i32_e32 vcc_lo, v2, v3
	s_or_b32 s4, vcc_lo, s4
	s_and_not1_b32 exec_lo, exec_lo, s4
	s_cbranch_execz .LBB25_17
.LBB25_4:                               ; =>This Inner Loop Header: Depth=1
	global_load_b64 v[8:9], v[4:5], off
	s_and_b32 vcc_lo, exec_lo, s2
	s_mov_b32 s10, -1
                                        ; implicit-def: $sgpr5
	s_wait_loadcnt 0x0
	v_sub_nc_u64_e64 v[8:9], v[8:9], s[8:9]
	s_cbranch_vccz .LBB25_10
; %bb.5:                                ;   in Loop: Header=BB25_4 Depth=1
	s_and_b32 vcc_lo, exec_lo, s3
                                        ; implicit-def: $sgpr5
	s_cbranch_vccz .LBB25_7
; %bb.6:                                ;   in Loop: Header=BB25_4 Depth=1
	s_delay_alu instid0(VALU_DEP_1)
	v_cmp_ge_i64_e64 s5, v[8:9], v[0:1]
	s_mov_b32 s10, 0
.LBB25_7:                               ;   in Loop: Header=BB25_4 Depth=1
	s_delay_alu instid0(SALU_CYCLE_1)
	s_and_not1_b32 vcc_lo, exec_lo, s10
	s_cbranch_vccnz .LBB25_9
; %bb.8:                                ;   in Loop: Header=BB25_4 Depth=1
	s_delay_alu instid0(VALU_DEP_1) | instskip(SKIP_2) | instid1(SALU_CYCLE_1)
	v_cmp_gt_i64_e32 vcc_lo, v[8:9], v[0:1]
	s_and_not1_b32 s5, s5, exec_lo
	s_and_b32 s10, vcc_lo, exec_lo
	s_or_b32 s5, s5, s10
.LBB25_9:                               ;   in Loop: Header=BB25_4 Depth=1
	s_mov_b32 s10, 0
.LBB25_10:                              ;   in Loop: Header=BB25_4 Depth=1
	s_delay_alu instid0(SALU_CYCLE_1)
	s_and_not1_b32 vcc_lo, exec_lo, s10
	s_cbranch_vccnz .LBB25_15
; %bb.11:                               ;   in Loop: Header=BB25_4 Depth=1
	s_and_b32 vcc_lo, exec_lo, s3
	s_mov_b32 s10, -1
                                        ; implicit-def: $sgpr5
	s_cbranch_vccz .LBB25_13
; %bb.12:                               ;   in Loop: Header=BB25_4 Depth=1
	v_cmp_le_i64_e64 s5, v[8:9], v[0:1]
	s_mov_b32 s10, 0
.LBB25_13:                              ;   in Loop: Header=BB25_4 Depth=1
	s_delay_alu instid0(SALU_CYCLE_1)
	s_and_not1_b32 vcc_lo, exec_lo, s10
	s_cbranch_vccnz .LBB25_15
; %bb.14:                               ;   in Loop: Header=BB25_4 Depth=1
	v_cmp_lt_i64_e32 vcc_lo, v[8:9], v[0:1]
	s_and_not1_b32 s5, s5, exec_lo
	s_and_b32 s10, vcc_lo, exec_lo
	s_delay_alu instid0(SALU_CYCLE_1)
	s_or_b32 s5, s5, s10
.LBB25_15:                              ;   in Loop: Header=BB25_4 Depth=1
	s_wait_xcnt 0x0
	s_and_saveexec_b32 s10, s5
	s_cbranch_execz .LBB25_3
; %bb.16:                               ;   in Loop: Header=BB25_4 Depth=1
	global_load_b64 v[12:13], v[6:7], off
	v_add_nc_u64_e32 v[8:9], s[0:1], v[8:9]
	v_add_nc_u32_e32 v11, 1, v10
	global_store_b64 v10, v[8:9], s[6:7] scale_offset
	s_wait_loadcnt 0x0
	global_store_b64 v10, v[12:13], s[12:13] scale_offset
	s_wait_xcnt 0x0
	v_mov_b32_e32 v10, v11
	s_branch .LBB25_3
.LBB25_17:
	s_endpgm
	.section	.rodata,"a",@progbits
	.p2align	6, 0x0
	.amdhsa_kernel _ZN9rocsparseL28internal_extract_fill_kernelILj1024E21rocsparse_complex_numIfEilEEvT2_PKT1_PKS3_PKT0_21rocsparse_index_base_b20rocsparse_diag_type_S6_PS3_PS9_SC_
		.amdhsa_group_segment_fixed_size 0
		.amdhsa_private_segment_fixed_size 0
		.amdhsa_kernarg_size 336
		.amdhsa_user_sgpr_count 2
		.amdhsa_user_sgpr_dispatch_ptr 0
		.amdhsa_user_sgpr_queue_ptr 0
		.amdhsa_user_sgpr_kernarg_segment_ptr 1
		.amdhsa_user_sgpr_dispatch_id 0
		.amdhsa_user_sgpr_kernarg_preload_length 0
		.amdhsa_user_sgpr_kernarg_preload_offset 0
		.amdhsa_user_sgpr_private_segment_size 0
		.amdhsa_wavefront_size32 1
		.amdhsa_uses_dynamic_stack 0
		.amdhsa_enable_private_segment 0
		.amdhsa_system_sgpr_workgroup_id_x 1
		.amdhsa_system_sgpr_workgroup_id_y 0
		.amdhsa_system_sgpr_workgroup_id_z 0
		.amdhsa_system_sgpr_workgroup_info 0
		.amdhsa_system_vgpr_workitem_id 0
		.amdhsa_next_free_vgpr 14
		.amdhsa_next_free_sgpr 20
		.amdhsa_named_barrier_count 0
		.amdhsa_reserve_vcc 1
		.amdhsa_float_round_mode_32 0
		.amdhsa_float_round_mode_16_64 0
		.amdhsa_float_denorm_mode_32 3
		.amdhsa_float_denorm_mode_16_64 3
		.amdhsa_fp16_overflow 0
		.amdhsa_memory_ordered 1
		.amdhsa_forward_progress 1
		.amdhsa_inst_pref_size 5
		.amdhsa_round_robin_scheduling 0
		.amdhsa_exception_fp_ieee_invalid_op 0
		.amdhsa_exception_fp_denorm_src 0
		.amdhsa_exception_fp_ieee_div_zero 0
		.amdhsa_exception_fp_ieee_overflow 0
		.amdhsa_exception_fp_ieee_underflow 0
		.amdhsa_exception_fp_ieee_inexact 0
		.amdhsa_exception_int_div_zero 0
	.end_amdhsa_kernel
	.section	.text._ZN9rocsparseL28internal_extract_fill_kernelILj1024E21rocsparse_complex_numIfEilEEvT2_PKT1_PKS3_PKT0_21rocsparse_index_base_b20rocsparse_diag_type_S6_PS3_PS9_SC_,"axG",@progbits,_ZN9rocsparseL28internal_extract_fill_kernelILj1024E21rocsparse_complex_numIfEilEEvT2_PKT1_PKS3_PKT0_21rocsparse_index_base_b20rocsparse_diag_type_S6_PS3_PS9_SC_,comdat
.Lfunc_end25:
	.size	_ZN9rocsparseL28internal_extract_fill_kernelILj1024E21rocsparse_complex_numIfEilEEvT2_PKT1_PKS3_PKT0_21rocsparse_index_base_b20rocsparse_diag_type_S6_PS3_PS9_SC_, .Lfunc_end25-_ZN9rocsparseL28internal_extract_fill_kernelILj1024E21rocsparse_complex_numIfEilEEvT2_PKT1_PKS3_PKT0_21rocsparse_index_base_b20rocsparse_diag_type_S6_PS3_PS9_SC_
                                        ; -- End function
	.set _ZN9rocsparseL28internal_extract_fill_kernelILj1024E21rocsparse_complex_numIfEilEEvT2_PKT1_PKS3_PKT0_21rocsparse_index_base_b20rocsparse_diag_type_S6_PS3_PS9_SC_.num_vgpr, 14
	.set _ZN9rocsparseL28internal_extract_fill_kernelILj1024E21rocsparse_complex_numIfEilEEvT2_PKT1_PKS3_PKT0_21rocsparse_index_base_b20rocsparse_diag_type_S6_PS3_PS9_SC_.num_agpr, 0
	.set _ZN9rocsparseL28internal_extract_fill_kernelILj1024E21rocsparse_complex_numIfEilEEvT2_PKT1_PKS3_PKT0_21rocsparse_index_base_b20rocsparse_diag_type_S6_PS3_PS9_SC_.numbered_sgpr, 20
	.set _ZN9rocsparseL28internal_extract_fill_kernelILj1024E21rocsparse_complex_numIfEilEEvT2_PKT1_PKS3_PKT0_21rocsparse_index_base_b20rocsparse_diag_type_S6_PS3_PS9_SC_.num_named_barrier, 0
	.set _ZN9rocsparseL28internal_extract_fill_kernelILj1024E21rocsparse_complex_numIfEilEEvT2_PKT1_PKS3_PKT0_21rocsparse_index_base_b20rocsparse_diag_type_S6_PS3_PS9_SC_.private_seg_size, 0
	.set _ZN9rocsparseL28internal_extract_fill_kernelILj1024E21rocsparse_complex_numIfEilEEvT2_PKT1_PKS3_PKT0_21rocsparse_index_base_b20rocsparse_diag_type_S6_PS3_PS9_SC_.uses_vcc, 1
	.set _ZN9rocsparseL28internal_extract_fill_kernelILj1024E21rocsparse_complex_numIfEilEEvT2_PKT1_PKS3_PKT0_21rocsparse_index_base_b20rocsparse_diag_type_S6_PS3_PS9_SC_.uses_flat_scratch, 0
	.set _ZN9rocsparseL28internal_extract_fill_kernelILj1024E21rocsparse_complex_numIfEilEEvT2_PKT1_PKS3_PKT0_21rocsparse_index_base_b20rocsparse_diag_type_S6_PS3_PS9_SC_.has_dyn_sized_stack, 0
	.set _ZN9rocsparseL28internal_extract_fill_kernelILj1024E21rocsparse_complex_numIfEilEEvT2_PKT1_PKS3_PKT0_21rocsparse_index_base_b20rocsparse_diag_type_S6_PS3_PS9_SC_.has_recursion, 0
	.set _ZN9rocsparseL28internal_extract_fill_kernelILj1024E21rocsparse_complex_numIfEilEEvT2_PKT1_PKS3_PKT0_21rocsparse_index_base_b20rocsparse_diag_type_S6_PS3_PS9_SC_.has_indirect_call, 0
	.section	.AMDGPU.csdata,"",@progbits
; Kernel info:
; codeLenInByte = 572
; TotalNumSgprs: 22
; NumVgprs: 14
; ScratchSize: 0
; MemoryBound: 0
; FloatMode: 240
; IeeeMode: 1
; LDSByteSize: 0 bytes/workgroup (compile time only)
; SGPRBlocks: 0
; VGPRBlocks: 0
; NumSGPRsForWavesPerEU: 22
; NumVGPRsForWavesPerEU: 14
; NamedBarCnt: 0
; Occupancy: 16
; WaveLimiterHint : 0
; COMPUTE_PGM_RSRC2:SCRATCH_EN: 0
; COMPUTE_PGM_RSRC2:USER_SGPR: 2
; COMPUTE_PGM_RSRC2:TRAP_HANDLER: 0
; COMPUTE_PGM_RSRC2:TGID_X_EN: 1
; COMPUTE_PGM_RSRC2:TGID_Y_EN: 0
; COMPUTE_PGM_RSRC2:TGID_Z_EN: 0
; COMPUTE_PGM_RSRC2:TIDIG_COMP_CNT: 0
	.section	.text._ZN9rocsparseL28internal_extract_fill_kernelILj1024E21rocsparse_complex_numIfEliEEvT2_PKT1_PKS3_PKT0_21rocsparse_index_base_b20rocsparse_diag_type_S6_PS3_PS9_SC_,"axG",@progbits,_ZN9rocsparseL28internal_extract_fill_kernelILj1024E21rocsparse_complex_numIfEliEEvT2_PKT1_PKS3_PKT0_21rocsparse_index_base_b20rocsparse_diag_type_S6_PS3_PS9_SC_,comdat
	.globl	_ZN9rocsparseL28internal_extract_fill_kernelILj1024E21rocsparse_complex_numIfEliEEvT2_PKT1_PKS3_PKT0_21rocsparse_index_base_b20rocsparse_diag_type_S6_PS3_PS9_SC_ ; -- Begin function _ZN9rocsparseL28internal_extract_fill_kernelILj1024E21rocsparse_complex_numIfEliEEvT2_PKT1_PKS3_PKT0_21rocsparse_index_base_b20rocsparse_diag_type_S6_PS3_PS9_SC_
	.p2align	8
	.type	_ZN9rocsparseL28internal_extract_fill_kernelILj1024E21rocsparse_complex_numIfEliEEvT2_PKT1_PKS3_PKT0_21rocsparse_index_base_b20rocsparse_diag_type_S6_PS3_PS9_SC_,@function
_ZN9rocsparseL28internal_extract_fill_kernelILj1024E21rocsparse_complex_numIfEliEEvT2_PKT1_PKS3_PKT0_21rocsparse_index_base_b20rocsparse_diag_type_S6_PS3_PS9_SC_: ; @_ZN9rocsparseL28internal_extract_fill_kernelILj1024E21rocsparse_complex_numIfEliEEvT2_PKT1_PKS3_PKT0_21rocsparse_index_base_b20rocsparse_diag_type_S6_PS3_PS9_SC_
; %bb.0:
	s_clause 0x1
	s_load_b32 s2, s[0:1], 0x0
	s_load_b32 s4, s[0:1], 0x5c
	s_bfe_u32 s3, ttmp6, 0x4000c
	s_and_b32 s5, ttmp6, 15
	s_add_co_i32 s3, s3, 1
	s_getreg_b32 s6, hwreg(HW_REG_IB_STS2, 6, 4)
	s_mul_i32 s7, ttmp9, s3
	v_mov_b32_e32 v5, 0
	s_add_co_i32 s5, s5, s7
	s_wait_kmcnt 0x0
	s_ashr_i32 s3, s2, 31
	s_and_b32 s4, s4, 0xffff
	s_cmp_eq_u32 s6, 0
	s_cselect_b32 s5, ttmp9, s5
	s_delay_alu instid0(SALU_CYCLE_1) | instskip(NEXT) | instid1(VALU_DEP_1)
	v_mad_u32 v4, s5, s4, v0
	v_cmp_gt_i64_e32 vcc_lo, s[2:3], v[4:5]
	s_and_saveexec_b32 s2, vcc_lo
	s_cbranch_execz .LBB26_17
; %bb.1:
	s_load_b64 s[2:3], s[0:1], 0x8
	s_wait_kmcnt 0x0
	v_lshl_add_u64 v[0:1], v[4:5], 3, s[2:3]
	global_load_b128 v[0:3], v[0:1], off
	s_wait_loadcnt 0x0
	v_cmp_lt_i64_e32 vcc_lo, v[0:1], v[2:3]
	s_and_b32 exec_lo, exec_lo, vcc_lo
	s_cbranch_execz .LBB26_17
; %bb.2:
	s_load_b128 s[4:7], s[0:1], 0x30
	v_lshlrev_b64_e32 v[10:11], 2, v[0:1]
	s_wait_kmcnt 0x0
	v_lshl_add_u64 v[6:7], v[4:5], 3, s[4:5]
	global_load_b64 v[8:9], v[6:7], off
	s_clause 0x2
	s_load_b96 s[8:10], s[0:1], 0x20
	s_load_b96 s[12:14], s[0:1], 0x40
	s_load_b128 s[16:19], s[0:1], 0x10
	v_lshlrev_b64_e32 v[6:7], 3, v[0:1]
	s_wait_xcnt 0x0
	s_mov_b32 s1, 0
	s_wait_kmcnt 0x0
	s_bitcmp1_b32 s9, 0
	s_cselect_b32 s0, -1, 0
	s_delay_alu instid0(SALU_CYCLE_1)
	s_xor_b32 s2, s0, -1
	s_cmp_lg_u32 s10, 1
	s_mov_b32 s0, s8
	s_cselect_b32 s3, -1, 0
	s_lshl_b64 s[4:5], s[0:1], 3
	s_lshl_b64 s[10:11], s[0:1], 2
	v_sub_nc_u64_e64 v[6:7], v[6:7], s[4:5]
	v_sub_nc_u64_e64 v[12:13], v[10:11], s[10:11]
	s_mov_b32 s5, s1
	s_mov_b32 s4, s14
	v_sub_nc_u64_e64 v[2:3], v[2:3], s[0:1]
	v_sub_nc_u64_e64 v[0:1], v[0:1], s[0:1]
	s_delay_alu instid0(VALU_DEP_4)
	v_add_nc_u64_e32 v[6:7], s[18:19], v[6:7]
	s_wait_loadcnt 0x0
	v_sub_nc_u64_e64 v[10:11], v[8:9], s[4:5]
	v_add_nc_u64_e32 v[8:9], s[16:17], v[12:13]
	s_branch .LBB26_4
.LBB26_3:                               ;   in Loop: Header=BB26_4 Depth=1
	s_wait_xcnt 0x0
	s_or_b32 exec_lo, exec_lo, s4
	v_add_nc_u64_e32 v[0:1], 1, v[0:1]
	v_add_nc_u64_e32 v[6:7], 8, v[6:7]
	;; [unrolled: 1-line block ×3, first 2 shown]
	s_delay_alu instid0(VALU_DEP_3) | instskip(SKIP_1) | instid1(SALU_CYCLE_1)
	v_cmp_ge_i64_e32 vcc_lo, v[0:1], v[2:3]
	s_or_b32 s1, vcc_lo, s1
	s_and_not1_b32 exec_lo, exec_lo, s1
	s_cbranch_execz .LBB26_17
.LBB26_4:                               ; =>This Inner Loop Header: Depth=1
	global_load_b32 v5, v[8:9], off
	s_and_b32 vcc_lo, exec_lo, s2
	s_mov_b32 s4, -1
                                        ; implicit-def: $sgpr0
	s_wait_loadcnt 0x0
	v_subrev_nc_u32_e32 v5, s8, v5
	s_cbranch_vccz .LBB26_10
; %bb.5:                                ;   in Loop: Header=BB26_4 Depth=1
	s_and_b32 vcc_lo, exec_lo, s3
                                        ; implicit-def: $sgpr0
	s_cbranch_vccz .LBB26_7
; %bb.6:                                ;   in Loop: Header=BB26_4 Depth=1
	s_delay_alu instid0(VALU_DEP_1)
	v_cmp_le_i32_e64 s0, v4, v5
	s_mov_b32 s4, 0
.LBB26_7:                               ;   in Loop: Header=BB26_4 Depth=1
	s_delay_alu instid0(SALU_CYCLE_1)
	s_and_not1_b32 vcc_lo, exec_lo, s4
	s_cbranch_vccnz .LBB26_9
; %bb.8:                                ;   in Loop: Header=BB26_4 Depth=1
	v_cmp_lt_i32_e32 vcc_lo, v4, v5
	s_and_not1_b32 s0, s0, exec_lo
	s_and_b32 s4, vcc_lo, exec_lo
	s_delay_alu instid0(SALU_CYCLE_1)
	s_or_b32 s0, s0, s4
.LBB26_9:                               ;   in Loop: Header=BB26_4 Depth=1
	s_mov_b32 s4, 0
.LBB26_10:                              ;   in Loop: Header=BB26_4 Depth=1
	s_delay_alu instid0(SALU_CYCLE_1)
	s_and_not1_b32 vcc_lo, exec_lo, s4
	s_cbranch_vccnz .LBB26_15
; %bb.11:                               ;   in Loop: Header=BB26_4 Depth=1
	s_and_b32 vcc_lo, exec_lo, s3
	s_mov_b32 s4, -1
                                        ; implicit-def: $sgpr0
	s_cbranch_vccz .LBB26_13
; %bb.12:                               ;   in Loop: Header=BB26_4 Depth=1
	v_cmp_ge_i32_e64 s0, v4, v5
	s_mov_b32 s4, 0
.LBB26_13:                              ;   in Loop: Header=BB26_4 Depth=1
	s_delay_alu instid0(SALU_CYCLE_1)
	s_and_not1_b32 vcc_lo, exec_lo, s4
	s_cbranch_vccnz .LBB26_15
; %bb.14:                               ;   in Loop: Header=BB26_4 Depth=1
	v_cmp_gt_i32_e32 vcc_lo, v4, v5
	s_and_not1_b32 s0, s0, exec_lo
	s_and_b32 s4, vcc_lo, exec_lo
	s_delay_alu instid0(SALU_CYCLE_1)
	s_or_b32 s0, s0, s4
.LBB26_15:                              ;   in Loop: Header=BB26_4 Depth=1
	s_wait_xcnt 0x0
	s_and_saveexec_b32 s4, s0
	s_cbranch_execz .LBB26_3
; %bb.16:                               ;   in Loop: Header=BB26_4 Depth=1
	global_load_b64 v[12:13], v[6:7], off
	v_add_nc_u64_e32 v[14:15], 1, v[10:11]
	v_lshl_add_u64 v[16:17], v[10:11], 2, s[6:7]
	v_lshl_add_u64 v[18:19], v[10:11], 3, s[12:13]
	v_add_nc_u32_e32 v5, s14, v5
	global_store_b32 v[16:17], v5, off
	s_wait_loadcnt 0x0
	global_store_b64 v[18:19], v[12:13], off
	v_mov_b64_e32 v[10:11], v[14:15]
	s_branch .LBB26_3
.LBB26_17:
	s_endpgm
	.section	.rodata,"a",@progbits
	.p2align	6, 0x0
	.amdhsa_kernel _ZN9rocsparseL28internal_extract_fill_kernelILj1024E21rocsparse_complex_numIfEliEEvT2_PKT1_PKS3_PKT0_21rocsparse_index_base_b20rocsparse_diag_type_S6_PS3_PS9_SC_
		.amdhsa_group_segment_fixed_size 0
		.amdhsa_private_segment_fixed_size 0
		.amdhsa_kernarg_size 336
		.amdhsa_user_sgpr_count 2
		.amdhsa_user_sgpr_dispatch_ptr 0
		.amdhsa_user_sgpr_queue_ptr 0
		.amdhsa_user_sgpr_kernarg_segment_ptr 1
		.amdhsa_user_sgpr_dispatch_id 0
		.amdhsa_user_sgpr_kernarg_preload_length 0
		.amdhsa_user_sgpr_kernarg_preload_offset 0
		.amdhsa_user_sgpr_private_segment_size 0
		.amdhsa_wavefront_size32 1
		.amdhsa_uses_dynamic_stack 0
		.amdhsa_enable_private_segment 0
		.amdhsa_system_sgpr_workgroup_id_x 1
		.amdhsa_system_sgpr_workgroup_id_y 0
		.amdhsa_system_sgpr_workgroup_id_z 0
		.amdhsa_system_sgpr_workgroup_info 0
		.amdhsa_system_vgpr_workitem_id 0
		.amdhsa_next_free_vgpr 20
		.amdhsa_next_free_sgpr 20
		.amdhsa_named_barrier_count 0
		.amdhsa_reserve_vcc 1
		.amdhsa_float_round_mode_32 0
		.amdhsa_float_round_mode_16_64 0
		.amdhsa_float_denorm_mode_32 3
		.amdhsa_float_denorm_mode_16_64 3
		.amdhsa_fp16_overflow 0
		.amdhsa_memory_ordered 1
		.amdhsa_forward_progress 1
		.amdhsa_inst_pref_size 5
		.amdhsa_round_robin_scheduling 0
		.amdhsa_exception_fp_ieee_invalid_op 0
		.amdhsa_exception_fp_denorm_src 0
		.amdhsa_exception_fp_ieee_div_zero 0
		.amdhsa_exception_fp_ieee_overflow 0
		.amdhsa_exception_fp_ieee_underflow 0
		.amdhsa_exception_fp_ieee_inexact 0
		.amdhsa_exception_int_div_zero 0
	.end_amdhsa_kernel
	.section	.text._ZN9rocsparseL28internal_extract_fill_kernelILj1024E21rocsparse_complex_numIfEliEEvT2_PKT1_PKS3_PKT0_21rocsparse_index_base_b20rocsparse_diag_type_S6_PS3_PS9_SC_,"axG",@progbits,_ZN9rocsparseL28internal_extract_fill_kernelILj1024E21rocsparse_complex_numIfEliEEvT2_PKT1_PKS3_PKT0_21rocsparse_index_base_b20rocsparse_diag_type_S6_PS3_PS9_SC_,comdat
.Lfunc_end26:
	.size	_ZN9rocsparseL28internal_extract_fill_kernelILj1024E21rocsparse_complex_numIfEliEEvT2_PKT1_PKS3_PKT0_21rocsparse_index_base_b20rocsparse_diag_type_S6_PS3_PS9_SC_, .Lfunc_end26-_ZN9rocsparseL28internal_extract_fill_kernelILj1024E21rocsparse_complex_numIfEliEEvT2_PKT1_PKS3_PKT0_21rocsparse_index_base_b20rocsparse_diag_type_S6_PS3_PS9_SC_
                                        ; -- End function
	.set _ZN9rocsparseL28internal_extract_fill_kernelILj1024E21rocsparse_complex_numIfEliEEvT2_PKT1_PKS3_PKT0_21rocsparse_index_base_b20rocsparse_diag_type_S6_PS3_PS9_SC_.num_vgpr, 20
	.set _ZN9rocsparseL28internal_extract_fill_kernelILj1024E21rocsparse_complex_numIfEliEEvT2_PKT1_PKS3_PKT0_21rocsparse_index_base_b20rocsparse_diag_type_S6_PS3_PS9_SC_.num_agpr, 0
	.set _ZN9rocsparseL28internal_extract_fill_kernelILj1024E21rocsparse_complex_numIfEliEEvT2_PKT1_PKS3_PKT0_21rocsparse_index_base_b20rocsparse_diag_type_S6_PS3_PS9_SC_.numbered_sgpr, 20
	.set _ZN9rocsparseL28internal_extract_fill_kernelILj1024E21rocsparse_complex_numIfEliEEvT2_PKT1_PKS3_PKT0_21rocsparse_index_base_b20rocsparse_diag_type_S6_PS3_PS9_SC_.num_named_barrier, 0
	.set _ZN9rocsparseL28internal_extract_fill_kernelILj1024E21rocsparse_complex_numIfEliEEvT2_PKT1_PKS3_PKT0_21rocsparse_index_base_b20rocsparse_diag_type_S6_PS3_PS9_SC_.private_seg_size, 0
	.set _ZN9rocsparseL28internal_extract_fill_kernelILj1024E21rocsparse_complex_numIfEliEEvT2_PKT1_PKS3_PKT0_21rocsparse_index_base_b20rocsparse_diag_type_S6_PS3_PS9_SC_.uses_vcc, 1
	.set _ZN9rocsparseL28internal_extract_fill_kernelILj1024E21rocsparse_complex_numIfEliEEvT2_PKT1_PKS3_PKT0_21rocsparse_index_base_b20rocsparse_diag_type_S6_PS3_PS9_SC_.uses_flat_scratch, 0
	.set _ZN9rocsparseL28internal_extract_fill_kernelILj1024E21rocsparse_complex_numIfEliEEvT2_PKT1_PKS3_PKT0_21rocsparse_index_base_b20rocsparse_diag_type_S6_PS3_PS9_SC_.has_dyn_sized_stack, 0
	.set _ZN9rocsparseL28internal_extract_fill_kernelILj1024E21rocsparse_complex_numIfEliEEvT2_PKT1_PKS3_PKT0_21rocsparse_index_base_b20rocsparse_diag_type_S6_PS3_PS9_SC_.has_recursion, 0
	.set _ZN9rocsparseL28internal_extract_fill_kernelILj1024E21rocsparse_complex_numIfEliEEvT2_PKT1_PKS3_PKT0_21rocsparse_index_base_b20rocsparse_diag_type_S6_PS3_PS9_SC_.has_indirect_call, 0
	.section	.AMDGPU.csdata,"",@progbits
; Kernel info:
; codeLenInByte = 620
; TotalNumSgprs: 22
; NumVgprs: 20
; ScratchSize: 0
; MemoryBound: 0
; FloatMode: 240
; IeeeMode: 1
; LDSByteSize: 0 bytes/workgroup (compile time only)
; SGPRBlocks: 0
; VGPRBlocks: 1
; NumSGPRsForWavesPerEU: 22
; NumVGPRsForWavesPerEU: 20
; NamedBarCnt: 0
; Occupancy: 16
; WaveLimiterHint : 0
; COMPUTE_PGM_RSRC2:SCRATCH_EN: 0
; COMPUTE_PGM_RSRC2:USER_SGPR: 2
; COMPUTE_PGM_RSRC2:TRAP_HANDLER: 0
; COMPUTE_PGM_RSRC2:TGID_X_EN: 1
; COMPUTE_PGM_RSRC2:TGID_Y_EN: 0
; COMPUTE_PGM_RSRC2:TGID_Z_EN: 0
; COMPUTE_PGM_RSRC2:TIDIG_COMP_CNT: 0
	.section	.text._ZN9rocsparseL28internal_extract_fill_kernelILj1024E21rocsparse_complex_numIfEllEEvT2_PKT1_PKS3_PKT0_21rocsparse_index_base_b20rocsparse_diag_type_S6_PS3_PS9_SC_,"axG",@progbits,_ZN9rocsparseL28internal_extract_fill_kernelILj1024E21rocsparse_complex_numIfEllEEvT2_PKT1_PKS3_PKT0_21rocsparse_index_base_b20rocsparse_diag_type_S6_PS3_PS9_SC_,comdat
	.globl	_ZN9rocsparseL28internal_extract_fill_kernelILj1024E21rocsparse_complex_numIfEllEEvT2_PKT1_PKS3_PKT0_21rocsparse_index_base_b20rocsparse_diag_type_S6_PS3_PS9_SC_ ; -- Begin function _ZN9rocsparseL28internal_extract_fill_kernelILj1024E21rocsparse_complex_numIfEllEEvT2_PKT1_PKS3_PKT0_21rocsparse_index_base_b20rocsparse_diag_type_S6_PS3_PS9_SC_
	.p2align	8
	.type	_ZN9rocsparseL28internal_extract_fill_kernelILj1024E21rocsparse_complex_numIfEllEEvT2_PKT1_PKS3_PKT0_21rocsparse_index_base_b20rocsparse_diag_type_S6_PS3_PS9_SC_,@function
_ZN9rocsparseL28internal_extract_fill_kernelILj1024E21rocsparse_complex_numIfEllEEvT2_PKT1_PKS3_PKT0_21rocsparse_index_base_b20rocsparse_diag_type_S6_PS3_PS9_SC_: ; @_ZN9rocsparseL28internal_extract_fill_kernelILj1024E21rocsparse_complex_numIfEllEEvT2_PKT1_PKS3_PKT0_21rocsparse_index_base_b20rocsparse_diag_type_S6_PS3_PS9_SC_
; %bb.0:
	s_clause 0x1
	s_load_b32 s4, s[0:1], 0x5c
	s_load_b64 s[2:3], s[0:1], 0x0
	s_bfe_u32 s5, ttmp6, 0x4000c
	s_and_b32 s6, ttmp6, 15
	s_add_co_i32 s5, s5, 1
	s_getreg_b32 s7, hwreg(HW_REG_IB_STS2, 6, 4)
	s_mul_i32 s5, ttmp9, s5
	v_mov_b32_e32 v5, 0
	s_add_co_i32 s6, s6, s5
	s_wait_kmcnt 0x0
	s_and_b32 s4, s4, 0xffff
	s_cmp_eq_u32 s7, 0
	s_cselect_b32 s5, ttmp9, s6
	s_delay_alu instid0(SALU_CYCLE_1) | instskip(NEXT) | instid1(VALU_DEP_1)
	v_mad_u32 v4, s5, s4, v0
	v_cmp_gt_i64_e32 vcc_lo, s[2:3], v[4:5]
	s_and_saveexec_b32 s2, vcc_lo
	s_cbranch_execz .LBB27_17
; %bb.1:
	s_load_b64 s[2:3], s[0:1], 0x8
	s_wait_kmcnt 0x0
	v_lshl_add_u64 v[0:1], v[4:5], 3, s[2:3]
	global_load_b128 v[0:3], v[0:1], off
	s_wait_loadcnt 0x0
	v_cmp_lt_i64_e32 vcc_lo, v[0:1], v[2:3]
	s_and_b32 exec_lo, exec_lo, vcc_lo
	s_cbranch_execz .LBB27_17
; %bb.2:
	s_load_b128 s[4:7], s[0:1], 0x30
	s_wait_kmcnt 0x0
	v_lshl_add_u64 v[6:7], v[4:5], 3, s[4:5]
	global_load_b64 v[8:9], v[6:7], off
	s_clause 0x2
	s_load_b96 s[16:18], s[0:1], 0x20
	s_load_b96 s[8:10], s[0:1], 0x40
	s_load_b128 s[12:15], s[0:1], 0x10
	v_lshlrev_b64_e32 v[6:7], 3, v[0:1]
	s_wait_xcnt 0x0
	s_mov_b32 s1, 0
	s_delay_alu instid0(SALU_CYCLE_1)
	s_mov_b32 s3, s1
	s_wait_kmcnt 0x0
	s_bitcmp1_b32 s17, 0
	s_mov_b32 s2, s16
	s_cselect_b32 s0, -1, 0
	v_sub_nc_u64_e64 v[2:3], v[2:3], s[2:3]
	s_xor_b32 s4, s0, -1
	s_cmp_lg_u32 s18, 1
	s_mov_b32 s0, s10
	s_cselect_b32 s5, -1, 0
	s_lshl_b64 s[16:17], s[2:3], 3
	v_sub_nc_u64_e64 v[0:1], v[0:1], s[2:3]
	v_sub_nc_u64_e64 v[12:13], v[6:7], s[16:17]
	s_mov_b32 s10, s1
	s_delay_alu instid0(VALU_DEP_1)
	v_add_nc_u64_e32 v[6:7], s[14:15], v[12:13]
	s_wait_loadcnt 0x0
	v_sub_nc_u64_e64 v[10:11], v[8:9], s[0:1]
	v_add_nc_u64_e32 v[8:9], s[12:13], v[12:13]
	s_branch .LBB27_4
.LBB27_3:                               ;   in Loop: Header=BB27_4 Depth=1
	s_wait_xcnt 0x0
	s_or_b32 exec_lo, exec_lo, s12
	v_add_nc_u64_e32 v[0:1], 1, v[0:1]
	v_add_nc_u64_e32 v[6:7], 8, v[6:7]
	;; [unrolled: 1-line block ×3, first 2 shown]
	s_delay_alu instid0(VALU_DEP_3) | instskip(SKIP_1) | instid1(SALU_CYCLE_1)
	v_cmp_ge_i64_e32 vcc_lo, v[0:1], v[2:3]
	s_or_b32 s10, vcc_lo, s10
	s_and_not1_b32 exec_lo, exec_lo, s10
	s_cbranch_execz .LBB27_17
.LBB27_4:                               ; =>This Inner Loop Header: Depth=1
	global_load_b64 v[12:13], v[8:9], off
	s_and_b32 vcc_lo, exec_lo, s4
	s_mov_b32 s12, -1
                                        ; implicit-def: $sgpr11
	s_wait_loadcnt 0x0
	v_sub_nc_u64_e64 v[12:13], v[12:13], s[2:3]
	s_cbranch_vccz .LBB27_10
; %bb.5:                                ;   in Loop: Header=BB27_4 Depth=1
	s_and_b32 vcc_lo, exec_lo, s5
                                        ; implicit-def: $sgpr11
	s_cbranch_vccz .LBB27_7
; %bb.6:                                ;   in Loop: Header=BB27_4 Depth=1
	s_delay_alu instid0(VALU_DEP_1)
	v_cmp_ge_i64_e64 s11, v[12:13], v[4:5]
	s_mov_b32 s12, 0
.LBB27_7:                               ;   in Loop: Header=BB27_4 Depth=1
	s_delay_alu instid0(SALU_CYCLE_1)
	s_and_not1_b32 vcc_lo, exec_lo, s12
	s_cbranch_vccnz .LBB27_9
; %bb.8:                                ;   in Loop: Header=BB27_4 Depth=1
	s_delay_alu instid0(VALU_DEP_1) | instskip(SKIP_2) | instid1(SALU_CYCLE_1)
	v_cmp_gt_i64_e32 vcc_lo, v[12:13], v[4:5]
	s_and_not1_b32 s11, s11, exec_lo
	s_and_b32 s12, vcc_lo, exec_lo
	s_or_b32 s11, s11, s12
.LBB27_9:                               ;   in Loop: Header=BB27_4 Depth=1
	s_mov_b32 s12, 0
.LBB27_10:                              ;   in Loop: Header=BB27_4 Depth=1
	s_delay_alu instid0(SALU_CYCLE_1)
	s_and_not1_b32 vcc_lo, exec_lo, s12
	s_cbranch_vccnz .LBB27_15
; %bb.11:                               ;   in Loop: Header=BB27_4 Depth=1
	s_and_b32 vcc_lo, exec_lo, s5
	s_mov_b32 s12, -1
                                        ; implicit-def: $sgpr11
	s_cbranch_vccz .LBB27_13
; %bb.12:                               ;   in Loop: Header=BB27_4 Depth=1
	v_cmp_le_i64_e64 s11, v[12:13], v[4:5]
	s_mov_b32 s12, 0
.LBB27_13:                              ;   in Loop: Header=BB27_4 Depth=1
	s_delay_alu instid0(SALU_CYCLE_1)
	s_and_not1_b32 vcc_lo, exec_lo, s12
	s_cbranch_vccnz .LBB27_15
; %bb.14:                               ;   in Loop: Header=BB27_4 Depth=1
	v_cmp_lt_i64_e32 vcc_lo, v[12:13], v[4:5]
	s_and_not1_b32 s11, s11, exec_lo
	s_and_b32 s12, vcc_lo, exec_lo
	s_delay_alu instid0(SALU_CYCLE_1)
	s_or_b32 s11, s11, s12
.LBB27_15:                              ;   in Loop: Header=BB27_4 Depth=1
	s_wait_xcnt 0x0
	s_and_saveexec_b32 s12, s11
	s_cbranch_execz .LBB27_3
; %bb.16:                               ;   in Loop: Header=BB27_4 Depth=1
	global_load_b64 v[14:15], v[6:7], off
	v_lshlrev_b64_e32 v[16:17], 3, v[10:11]
	v_add_nc_u64_e32 v[10:11], 1, v[10:11]
	v_add_nc_u64_e32 v[12:13], s[0:1], v[12:13]
	s_delay_alu instid0(VALU_DEP_3)
	v_add_nc_u64_e32 v[18:19], s[6:7], v[16:17]
	v_add_nc_u64_e32 v[16:17], s[8:9], v[16:17]
	global_store_b64 v[18:19], v[12:13], off
	s_wait_loadcnt 0x0
	global_store_b64 v[16:17], v[14:15], off
	s_branch .LBB27_3
.LBB27_17:
	s_endpgm
	.section	.rodata,"a",@progbits
	.p2align	6, 0x0
	.amdhsa_kernel _ZN9rocsparseL28internal_extract_fill_kernelILj1024E21rocsparse_complex_numIfEllEEvT2_PKT1_PKS3_PKT0_21rocsparse_index_base_b20rocsparse_diag_type_S6_PS3_PS9_SC_
		.amdhsa_group_segment_fixed_size 0
		.amdhsa_private_segment_fixed_size 0
		.amdhsa_kernarg_size 336
		.amdhsa_user_sgpr_count 2
		.amdhsa_user_sgpr_dispatch_ptr 0
		.amdhsa_user_sgpr_queue_ptr 0
		.amdhsa_user_sgpr_kernarg_segment_ptr 1
		.amdhsa_user_sgpr_dispatch_id 0
		.amdhsa_user_sgpr_kernarg_preload_length 0
		.amdhsa_user_sgpr_kernarg_preload_offset 0
		.amdhsa_user_sgpr_private_segment_size 0
		.amdhsa_wavefront_size32 1
		.amdhsa_uses_dynamic_stack 0
		.amdhsa_enable_private_segment 0
		.amdhsa_system_sgpr_workgroup_id_x 1
		.amdhsa_system_sgpr_workgroup_id_y 0
		.amdhsa_system_sgpr_workgroup_id_z 0
		.amdhsa_system_sgpr_workgroup_info 0
		.amdhsa_system_vgpr_workitem_id 0
		.amdhsa_next_free_vgpr 20
		.amdhsa_next_free_sgpr 19
		.amdhsa_named_barrier_count 0
		.amdhsa_reserve_vcc 1
		.amdhsa_float_round_mode_32 0
		.amdhsa_float_round_mode_16_64 0
		.amdhsa_float_denorm_mode_32 3
		.amdhsa_float_denorm_mode_16_64 3
		.amdhsa_fp16_overflow 0
		.amdhsa_memory_ordered 1
		.amdhsa_forward_progress 1
		.amdhsa_inst_pref_size 5
		.amdhsa_round_robin_scheduling 0
		.amdhsa_exception_fp_ieee_invalid_op 0
		.amdhsa_exception_fp_denorm_src 0
		.amdhsa_exception_fp_ieee_div_zero 0
		.amdhsa_exception_fp_ieee_overflow 0
		.amdhsa_exception_fp_ieee_underflow 0
		.amdhsa_exception_fp_ieee_inexact 0
		.amdhsa_exception_int_div_zero 0
	.end_amdhsa_kernel
	.section	.text._ZN9rocsparseL28internal_extract_fill_kernelILj1024E21rocsparse_complex_numIfEllEEvT2_PKT1_PKS3_PKT0_21rocsparse_index_base_b20rocsparse_diag_type_S6_PS3_PS9_SC_,"axG",@progbits,_ZN9rocsparseL28internal_extract_fill_kernelILj1024E21rocsparse_complex_numIfEllEEvT2_PKT1_PKS3_PKT0_21rocsparse_index_base_b20rocsparse_diag_type_S6_PS3_PS9_SC_,comdat
.Lfunc_end27:
	.size	_ZN9rocsparseL28internal_extract_fill_kernelILj1024E21rocsparse_complex_numIfEllEEvT2_PKT1_PKS3_PKT0_21rocsparse_index_base_b20rocsparse_diag_type_S6_PS3_PS9_SC_, .Lfunc_end27-_ZN9rocsparseL28internal_extract_fill_kernelILj1024E21rocsparse_complex_numIfEllEEvT2_PKT1_PKS3_PKT0_21rocsparse_index_base_b20rocsparse_diag_type_S6_PS3_PS9_SC_
                                        ; -- End function
	.set _ZN9rocsparseL28internal_extract_fill_kernelILj1024E21rocsparse_complex_numIfEllEEvT2_PKT1_PKS3_PKT0_21rocsparse_index_base_b20rocsparse_diag_type_S6_PS3_PS9_SC_.num_vgpr, 20
	.set _ZN9rocsparseL28internal_extract_fill_kernelILj1024E21rocsparse_complex_numIfEllEEvT2_PKT1_PKS3_PKT0_21rocsparse_index_base_b20rocsparse_diag_type_S6_PS3_PS9_SC_.num_agpr, 0
	.set _ZN9rocsparseL28internal_extract_fill_kernelILj1024E21rocsparse_complex_numIfEllEEvT2_PKT1_PKS3_PKT0_21rocsparse_index_base_b20rocsparse_diag_type_S6_PS3_PS9_SC_.numbered_sgpr, 19
	.set _ZN9rocsparseL28internal_extract_fill_kernelILj1024E21rocsparse_complex_numIfEllEEvT2_PKT1_PKS3_PKT0_21rocsparse_index_base_b20rocsparse_diag_type_S6_PS3_PS9_SC_.num_named_barrier, 0
	.set _ZN9rocsparseL28internal_extract_fill_kernelILj1024E21rocsparse_complex_numIfEllEEvT2_PKT1_PKS3_PKT0_21rocsparse_index_base_b20rocsparse_diag_type_S6_PS3_PS9_SC_.private_seg_size, 0
	.set _ZN9rocsparseL28internal_extract_fill_kernelILj1024E21rocsparse_complex_numIfEllEEvT2_PKT1_PKS3_PKT0_21rocsparse_index_base_b20rocsparse_diag_type_S6_PS3_PS9_SC_.uses_vcc, 1
	.set _ZN9rocsparseL28internal_extract_fill_kernelILj1024E21rocsparse_complex_numIfEllEEvT2_PKT1_PKS3_PKT0_21rocsparse_index_base_b20rocsparse_diag_type_S6_PS3_PS9_SC_.uses_flat_scratch, 0
	.set _ZN9rocsparseL28internal_extract_fill_kernelILj1024E21rocsparse_complex_numIfEllEEvT2_PKT1_PKS3_PKT0_21rocsparse_index_base_b20rocsparse_diag_type_S6_PS3_PS9_SC_.has_dyn_sized_stack, 0
	.set _ZN9rocsparseL28internal_extract_fill_kernelILj1024E21rocsparse_complex_numIfEllEEvT2_PKT1_PKS3_PKT0_21rocsparse_index_base_b20rocsparse_diag_type_S6_PS3_PS9_SC_.has_recursion, 0
	.set _ZN9rocsparseL28internal_extract_fill_kernelILj1024E21rocsparse_complex_numIfEllEEvT2_PKT1_PKS3_PKT0_21rocsparse_index_base_b20rocsparse_diag_type_S6_PS3_PS9_SC_.has_indirect_call, 0
	.section	.AMDGPU.csdata,"",@progbits
; Kernel info:
; codeLenInByte = 604
; TotalNumSgprs: 21
; NumVgprs: 20
; ScratchSize: 0
; MemoryBound: 0
; FloatMode: 240
; IeeeMode: 1
; LDSByteSize: 0 bytes/workgroup (compile time only)
; SGPRBlocks: 0
; VGPRBlocks: 1
; NumSGPRsForWavesPerEU: 21
; NumVGPRsForWavesPerEU: 20
; NamedBarCnt: 0
; Occupancy: 16
; WaveLimiterHint : 0
; COMPUTE_PGM_RSRC2:SCRATCH_EN: 0
; COMPUTE_PGM_RSRC2:USER_SGPR: 2
; COMPUTE_PGM_RSRC2:TRAP_HANDLER: 0
; COMPUTE_PGM_RSRC2:TGID_X_EN: 1
; COMPUTE_PGM_RSRC2:TGID_Y_EN: 0
; COMPUTE_PGM_RSRC2:TGID_Z_EN: 0
; COMPUTE_PGM_RSRC2:TIDIG_COMP_CNT: 0
	.section	.text._ZN9rocsparseL28internal_extract_fill_kernelILj1024E21rocsparse_complex_numIdEiiEEvT2_PKT1_PKS3_PKT0_21rocsparse_index_base_b20rocsparse_diag_type_S6_PS3_PS9_SC_,"axG",@progbits,_ZN9rocsparseL28internal_extract_fill_kernelILj1024E21rocsparse_complex_numIdEiiEEvT2_PKT1_PKS3_PKT0_21rocsparse_index_base_b20rocsparse_diag_type_S6_PS3_PS9_SC_,comdat
	.globl	_ZN9rocsparseL28internal_extract_fill_kernelILj1024E21rocsparse_complex_numIdEiiEEvT2_PKT1_PKS3_PKT0_21rocsparse_index_base_b20rocsparse_diag_type_S6_PS3_PS9_SC_ ; -- Begin function _ZN9rocsparseL28internal_extract_fill_kernelILj1024E21rocsparse_complex_numIdEiiEEvT2_PKT1_PKS3_PKT0_21rocsparse_index_base_b20rocsparse_diag_type_S6_PS3_PS9_SC_
	.p2align	8
	.type	_ZN9rocsparseL28internal_extract_fill_kernelILj1024E21rocsparse_complex_numIdEiiEEvT2_PKT1_PKS3_PKT0_21rocsparse_index_base_b20rocsparse_diag_type_S6_PS3_PS9_SC_,@function
_ZN9rocsparseL28internal_extract_fill_kernelILj1024E21rocsparse_complex_numIdEiiEEvT2_PKT1_PKS3_PKT0_21rocsparse_index_base_b20rocsparse_diag_type_S6_PS3_PS9_SC_: ; @_ZN9rocsparseL28internal_extract_fill_kernelILj1024E21rocsparse_complex_numIdEiiEEvT2_PKT1_PKS3_PKT0_21rocsparse_index_base_b20rocsparse_diag_type_S6_PS3_PS9_SC_
; %bb.0:
	s_clause 0x1
	s_load_b32 s2, s[0:1], 0x5c
	s_load_b32 s3, s[0:1], 0x0
	s_bfe_u32 s4, ttmp6, 0x4000c
	s_and_b32 s5, ttmp6, 15
	s_add_co_i32 s4, s4, 1
	s_getreg_b32 s6, hwreg(HW_REG_IB_STS2, 6, 4)
	s_mul_i32 s4, ttmp9, s4
	s_delay_alu instid0(SALU_CYCLE_1) | instskip(SKIP_4) | instid1(SALU_CYCLE_1)
	s_add_co_i32 s5, s5, s4
	s_wait_kmcnt 0x0
	s_and_b32 s2, s2, 0xffff
	s_cmp_eq_u32 s6, 0
	s_cselect_b32 s4, ttmp9, s5
	v_mad_u32 v0, s4, s2, v0
	s_mov_b32 s2, exec_lo
	s_delay_alu instid0(VALU_DEP_1)
	v_cmpx_gt_i32_e64 s3, v0
	s_cbranch_execz .LBB28_17
; %bb.1:
	s_load_b64 s[2:3], s[0:1], 0x8
	v_ashrrev_i32_e32 v1, 31, v0
	s_wait_kmcnt 0x0
	s_delay_alu instid0(VALU_DEP_1)
	v_lshl_add_u64 v[2:3], v[0:1], 2, s[2:3]
	global_load_b64 v[4:5], v[2:3], off
	s_wait_loadcnt 0x0
	v_cmp_lt_i32_e32 vcc_lo, v4, v5
	s_and_b32 exec_lo, exec_lo, vcc_lo
	s_cbranch_execz .LBB28_17
; %bb.2:
	s_load_b128 s[4:7], s[0:1], 0x30
	s_mov_b32 s2, 0
	s_wait_kmcnt 0x0
	v_lshl_add_u64 v[2:3], v[0:1], 2, s[4:5]
	global_load_b32 v6, v[2:3], off
	s_clause 0x2
	s_load_b96 s[8:10], s[0:1], 0x20
	s_load_b128 s[16:19], s[0:1], 0x10
	s_load_b96 s[12:14], s[0:1], 0x40
	s_wait_kmcnt 0x0
	v_subrev_nc_u32_e32 v2, s8, v4
	s_bitcmp1_b32 s9, 0
	v_subrev_nc_u32_e32 v1, s8, v5
	s_cselect_b32 s0, -1, 0
	s_delay_alu instid0(VALU_DEP_2) | instskip(SKIP_3) | instid1(VALU_DEP_1)
	v_ashrrev_i32_e32 v3, 31, v2
	s_xor_b32 s0, s0, -1
	s_cmp_lg_u32 s10, 1
	s_cselect_b32 s1, -1, 0
	v_lshl_add_u64 v[4:5], v[2:3], 2, s[16:17]
	s_wait_loadcnt 0x0
	v_subrev_nc_u32_e32 v8, s14, v6
	v_lshl_add_u64 v[6:7], v[2:3], 4, s[18:19]
	s_branch .LBB28_4
.LBB28_3:                               ;   in Loop: Header=BB28_4 Depth=1
	s_or_b32 exec_lo, exec_lo, s4
	v_add_nc_u32_e32 v2, 1, v2
	v_add_nc_u64_e32 v[4:5], 4, v[4:5]
	v_add_nc_u64_e32 v[6:7], 16, v[6:7]
	s_delay_alu instid0(VALU_DEP_3) | instskip(SKIP_1) | instid1(SALU_CYCLE_1)
	v_cmp_ge_i32_e32 vcc_lo, v2, v1
	s_or_b32 s2, vcc_lo, s2
	s_and_not1_b32 exec_lo, exec_lo, s2
	s_cbranch_execz .LBB28_17
.LBB28_4:                               ; =>This Inner Loop Header: Depth=1
	global_load_b32 v3, v[4:5], off
	s_and_b32 vcc_lo, exec_lo, s0
	s_mov_b32 s4, -1
                                        ; implicit-def: $sgpr3
	s_wait_loadcnt 0x0
	v_subrev_nc_u32_e32 v3, s8, v3
	s_cbranch_vccz .LBB28_10
; %bb.5:                                ;   in Loop: Header=BB28_4 Depth=1
	s_and_b32 vcc_lo, exec_lo, s1
                                        ; implicit-def: $sgpr3
	s_cbranch_vccz .LBB28_7
; %bb.6:                                ;   in Loop: Header=BB28_4 Depth=1
	s_delay_alu instid0(VALU_DEP_1)
	v_cmp_le_i32_e64 s3, v0, v3
	s_mov_b32 s4, 0
.LBB28_7:                               ;   in Loop: Header=BB28_4 Depth=1
	s_delay_alu instid0(SALU_CYCLE_1)
	s_and_not1_b32 vcc_lo, exec_lo, s4
	s_cbranch_vccnz .LBB28_9
; %bb.8:                                ;   in Loop: Header=BB28_4 Depth=1
	v_cmp_lt_i32_e32 vcc_lo, v0, v3
	s_and_not1_b32 s3, s3, exec_lo
	s_and_b32 s4, vcc_lo, exec_lo
	s_delay_alu instid0(SALU_CYCLE_1)
	s_or_b32 s3, s3, s4
.LBB28_9:                               ;   in Loop: Header=BB28_4 Depth=1
	s_mov_b32 s4, 0
.LBB28_10:                              ;   in Loop: Header=BB28_4 Depth=1
	s_delay_alu instid0(SALU_CYCLE_1)
	s_and_not1_b32 vcc_lo, exec_lo, s4
	s_cbranch_vccnz .LBB28_15
; %bb.11:                               ;   in Loop: Header=BB28_4 Depth=1
	s_and_b32 vcc_lo, exec_lo, s1
	s_mov_b32 s4, -1
                                        ; implicit-def: $sgpr3
	s_cbranch_vccz .LBB28_13
; %bb.12:                               ;   in Loop: Header=BB28_4 Depth=1
	v_cmp_ge_i32_e64 s3, v0, v3
	s_mov_b32 s4, 0
.LBB28_13:                              ;   in Loop: Header=BB28_4 Depth=1
	s_delay_alu instid0(SALU_CYCLE_1)
	s_and_not1_b32 vcc_lo, exec_lo, s4
	s_cbranch_vccnz .LBB28_15
; %bb.14:                               ;   in Loop: Header=BB28_4 Depth=1
	v_cmp_gt_i32_e32 vcc_lo, v0, v3
	s_and_not1_b32 s3, s3, exec_lo
	s_and_b32 s4, vcc_lo, exec_lo
	s_delay_alu instid0(SALU_CYCLE_1)
	s_or_b32 s3, s3, s4
.LBB28_15:                              ;   in Loop: Header=BB28_4 Depth=1
	s_wait_xcnt 0x0
	s_and_saveexec_b32 s4, s3
	s_cbranch_execz .LBB28_3
; %bb.16:                               ;   in Loop: Header=BB28_4 Depth=1
	global_load_b128 v[10:13], v[6:7], off
	v_dual_add_nc_u32 v3, s14, v3 :: v_dual_add_nc_u32 v9, 1, v8
	global_store_b32 v8, v3, s[6:7] scale_offset
	s_wait_loadcnt 0x0
	global_store_b128 v8, v[10:13], s[12:13] scale_offset
	s_wait_xcnt 0x0
	v_mov_b32_e32 v8, v9
	s_branch .LBB28_3
.LBB28_17:
	s_endpgm
	.section	.rodata,"a",@progbits
	.p2align	6, 0x0
	.amdhsa_kernel _ZN9rocsparseL28internal_extract_fill_kernelILj1024E21rocsparse_complex_numIdEiiEEvT2_PKT1_PKS3_PKT0_21rocsparse_index_base_b20rocsparse_diag_type_S6_PS3_PS9_SC_
		.amdhsa_group_segment_fixed_size 0
		.amdhsa_private_segment_fixed_size 0
		.amdhsa_kernarg_size 336
		.amdhsa_user_sgpr_count 2
		.amdhsa_user_sgpr_dispatch_ptr 0
		.amdhsa_user_sgpr_queue_ptr 0
		.amdhsa_user_sgpr_kernarg_segment_ptr 1
		.amdhsa_user_sgpr_dispatch_id 0
		.amdhsa_user_sgpr_kernarg_preload_length 0
		.amdhsa_user_sgpr_kernarg_preload_offset 0
		.amdhsa_user_sgpr_private_segment_size 0
		.amdhsa_wavefront_size32 1
		.amdhsa_uses_dynamic_stack 0
		.amdhsa_enable_private_segment 0
		.amdhsa_system_sgpr_workgroup_id_x 1
		.amdhsa_system_sgpr_workgroup_id_y 0
		.amdhsa_system_sgpr_workgroup_id_z 0
		.amdhsa_system_sgpr_workgroup_info 0
		.amdhsa_system_vgpr_workitem_id 0
		.amdhsa_next_free_vgpr 14
		.amdhsa_next_free_sgpr 20
		.amdhsa_named_barrier_count 0
		.amdhsa_reserve_vcc 1
		.amdhsa_float_round_mode_32 0
		.amdhsa_float_round_mode_16_64 0
		.amdhsa_float_denorm_mode_32 3
		.amdhsa_float_denorm_mode_16_64 3
		.amdhsa_fp16_overflow 0
		.amdhsa_memory_ordered 1
		.amdhsa_forward_progress 1
		.amdhsa_inst_pref_size 5
		.amdhsa_round_robin_scheduling 0
		.amdhsa_exception_fp_ieee_invalid_op 0
		.amdhsa_exception_fp_denorm_src 0
		.amdhsa_exception_fp_ieee_div_zero 0
		.amdhsa_exception_fp_ieee_overflow 0
		.amdhsa_exception_fp_ieee_underflow 0
		.amdhsa_exception_fp_ieee_inexact 0
		.amdhsa_exception_int_div_zero 0
	.end_amdhsa_kernel
	.section	.text._ZN9rocsparseL28internal_extract_fill_kernelILj1024E21rocsparse_complex_numIdEiiEEvT2_PKT1_PKS3_PKT0_21rocsparse_index_base_b20rocsparse_diag_type_S6_PS3_PS9_SC_,"axG",@progbits,_ZN9rocsparseL28internal_extract_fill_kernelILj1024E21rocsparse_complex_numIdEiiEEvT2_PKT1_PKS3_PKT0_21rocsparse_index_base_b20rocsparse_diag_type_S6_PS3_PS9_SC_,comdat
.Lfunc_end28:
	.size	_ZN9rocsparseL28internal_extract_fill_kernelILj1024E21rocsparse_complex_numIdEiiEEvT2_PKT1_PKS3_PKT0_21rocsparse_index_base_b20rocsparse_diag_type_S6_PS3_PS9_SC_, .Lfunc_end28-_ZN9rocsparseL28internal_extract_fill_kernelILj1024E21rocsparse_complex_numIdEiiEEvT2_PKT1_PKS3_PKT0_21rocsparse_index_base_b20rocsparse_diag_type_S6_PS3_PS9_SC_
                                        ; -- End function
	.set _ZN9rocsparseL28internal_extract_fill_kernelILj1024E21rocsparse_complex_numIdEiiEEvT2_PKT1_PKS3_PKT0_21rocsparse_index_base_b20rocsparse_diag_type_S6_PS3_PS9_SC_.num_vgpr, 14
	.set _ZN9rocsparseL28internal_extract_fill_kernelILj1024E21rocsparse_complex_numIdEiiEEvT2_PKT1_PKS3_PKT0_21rocsparse_index_base_b20rocsparse_diag_type_S6_PS3_PS9_SC_.num_agpr, 0
	.set _ZN9rocsparseL28internal_extract_fill_kernelILj1024E21rocsparse_complex_numIdEiiEEvT2_PKT1_PKS3_PKT0_21rocsparse_index_base_b20rocsparse_diag_type_S6_PS3_PS9_SC_.numbered_sgpr, 20
	.set _ZN9rocsparseL28internal_extract_fill_kernelILj1024E21rocsparse_complex_numIdEiiEEvT2_PKT1_PKS3_PKT0_21rocsparse_index_base_b20rocsparse_diag_type_S6_PS3_PS9_SC_.num_named_barrier, 0
	.set _ZN9rocsparseL28internal_extract_fill_kernelILj1024E21rocsparse_complex_numIdEiiEEvT2_PKT1_PKS3_PKT0_21rocsparse_index_base_b20rocsparse_diag_type_S6_PS3_PS9_SC_.private_seg_size, 0
	.set _ZN9rocsparseL28internal_extract_fill_kernelILj1024E21rocsparse_complex_numIdEiiEEvT2_PKT1_PKS3_PKT0_21rocsparse_index_base_b20rocsparse_diag_type_S6_PS3_PS9_SC_.uses_vcc, 1
	.set _ZN9rocsparseL28internal_extract_fill_kernelILj1024E21rocsparse_complex_numIdEiiEEvT2_PKT1_PKS3_PKT0_21rocsparse_index_base_b20rocsparse_diag_type_S6_PS3_PS9_SC_.uses_flat_scratch, 0
	.set _ZN9rocsparseL28internal_extract_fill_kernelILj1024E21rocsparse_complex_numIdEiiEEvT2_PKT1_PKS3_PKT0_21rocsparse_index_base_b20rocsparse_diag_type_S6_PS3_PS9_SC_.has_dyn_sized_stack, 0
	.set _ZN9rocsparseL28internal_extract_fill_kernelILj1024E21rocsparse_complex_numIdEiiEEvT2_PKT1_PKS3_PKT0_21rocsparse_index_base_b20rocsparse_diag_type_S6_PS3_PS9_SC_.has_recursion, 0
	.set _ZN9rocsparseL28internal_extract_fill_kernelILj1024E21rocsparse_complex_numIdEiiEEvT2_PKT1_PKS3_PKT0_21rocsparse_index_base_b20rocsparse_diag_type_S6_PS3_PS9_SC_.has_indirect_call, 0
	.section	.AMDGPU.csdata,"",@progbits
; Kernel info:
; codeLenInByte = 564
; TotalNumSgprs: 22
; NumVgprs: 14
; ScratchSize: 0
; MemoryBound: 0
; FloatMode: 240
; IeeeMode: 1
; LDSByteSize: 0 bytes/workgroup (compile time only)
; SGPRBlocks: 0
; VGPRBlocks: 0
; NumSGPRsForWavesPerEU: 22
; NumVGPRsForWavesPerEU: 14
; NamedBarCnt: 0
; Occupancy: 16
; WaveLimiterHint : 0
; COMPUTE_PGM_RSRC2:SCRATCH_EN: 0
; COMPUTE_PGM_RSRC2:USER_SGPR: 2
; COMPUTE_PGM_RSRC2:TRAP_HANDLER: 0
; COMPUTE_PGM_RSRC2:TGID_X_EN: 1
; COMPUTE_PGM_RSRC2:TGID_Y_EN: 0
; COMPUTE_PGM_RSRC2:TGID_Z_EN: 0
; COMPUTE_PGM_RSRC2:TIDIG_COMP_CNT: 0
	.section	.text._ZN9rocsparseL28internal_extract_fill_kernelILj1024E21rocsparse_complex_numIdEilEEvT2_PKT1_PKS3_PKT0_21rocsparse_index_base_b20rocsparse_diag_type_S6_PS3_PS9_SC_,"axG",@progbits,_ZN9rocsparseL28internal_extract_fill_kernelILj1024E21rocsparse_complex_numIdEilEEvT2_PKT1_PKS3_PKT0_21rocsparse_index_base_b20rocsparse_diag_type_S6_PS3_PS9_SC_,comdat
	.globl	_ZN9rocsparseL28internal_extract_fill_kernelILj1024E21rocsparse_complex_numIdEilEEvT2_PKT1_PKS3_PKT0_21rocsparse_index_base_b20rocsparse_diag_type_S6_PS3_PS9_SC_ ; -- Begin function _ZN9rocsparseL28internal_extract_fill_kernelILj1024E21rocsparse_complex_numIdEilEEvT2_PKT1_PKS3_PKT0_21rocsparse_index_base_b20rocsparse_diag_type_S6_PS3_PS9_SC_
	.p2align	8
	.type	_ZN9rocsparseL28internal_extract_fill_kernelILj1024E21rocsparse_complex_numIdEilEEvT2_PKT1_PKS3_PKT0_21rocsparse_index_base_b20rocsparse_diag_type_S6_PS3_PS9_SC_,@function
_ZN9rocsparseL28internal_extract_fill_kernelILj1024E21rocsparse_complex_numIdEilEEvT2_PKT1_PKS3_PKT0_21rocsparse_index_base_b20rocsparse_diag_type_S6_PS3_PS9_SC_: ; @_ZN9rocsparseL28internal_extract_fill_kernelILj1024E21rocsparse_complex_numIdEilEEvT2_PKT1_PKS3_PKT0_21rocsparse_index_base_b20rocsparse_diag_type_S6_PS3_PS9_SC_
; %bb.0:
	s_clause 0x1
	s_load_b32 s4, s[0:1], 0x5c
	s_load_b64 s[2:3], s[0:1], 0x0
	s_bfe_u32 s5, ttmp6, 0x4000c
	s_and_b32 s6, ttmp6, 15
	s_add_co_i32 s5, s5, 1
	s_getreg_b32 s7, hwreg(HW_REG_IB_STS2, 6, 4)
	s_mul_i32 s5, ttmp9, s5
	s_delay_alu instid0(SALU_CYCLE_1) | instskip(SKIP_4) | instid1(SALU_CYCLE_1)
	s_add_co_i32 s6, s6, s5
	s_wait_kmcnt 0x0
	s_and_b32 s4, s4, 0xffff
	s_cmp_eq_u32 s7, 0
	s_cselect_b32 s5, ttmp9, s6
	v_mad_u32 v0, s5, s4, v0
	s_delay_alu instid0(VALU_DEP_1) | instskip(NEXT) | instid1(VALU_DEP_1)
	v_ashrrev_i32_e32 v1, 31, v0
	v_cmp_gt_i64_e32 vcc_lo, s[2:3], v[0:1]
	s_and_saveexec_b32 s2, vcc_lo
	s_cbranch_execz .LBB29_17
; %bb.1:
	s_load_b64 s[2:3], s[0:1], 0x8
	s_wait_kmcnt 0x0
	v_lshl_add_u64 v[2:3], v[0:1], 2, s[2:3]
	global_load_b64 v[2:3], v[2:3], off
	s_wait_loadcnt 0x0
	v_cmp_lt_i32_e32 vcc_lo, v2, v3
	s_and_b32 exec_lo, exec_lo, vcc_lo
	s_cbranch_execz .LBB29_17
; %bb.2:
	s_load_b128 s[4:7], s[0:1], 0x30
	s_wait_kmcnt 0x0
	v_lshl_add_u64 v[4:5], v[0:1], 2, s[4:5]
	global_load_b32 v6, v[4:5], off
	s_clause 0x2
	s_load_b96 s[8:10], s[0:1], 0x20
	s_load_b96 s[12:14], s[0:1], 0x40
	s_load_b128 s[16:19], s[0:1], 0x10
	s_wait_xcnt 0x0
	s_mov_b32 s1, 0
	s_delay_alu instid0(SALU_CYCLE_1)
	s_mov_b32 s4, s1
	s_wait_kmcnt 0x0
	v_subrev_nc_u32_e32 v2, s8, v2
	v_subrev_nc_u32_e32 v10, s8, v3
	s_bitcmp1_b32 s9, 0
	s_mov_b32 s0, s14
	s_cselect_b32 s2, -1, 0
	v_ashrrev_i32_e32 v3, 31, v2
	s_xor_b32 s2, s2, -1
	s_cmp_lg_u32 s10, 1
	s_mov_b32 s9, s1
	s_cselect_b32 s3, -1, 0
	v_lshl_add_u64 v[4:5], v[2:3], 3, s[16:17]
	s_wait_loadcnt 0x0
	v_subrev_nc_u32_e32 v11, s14, v6
	v_lshl_add_u64 v[6:7], v[2:3], 4, s[18:19]
	s_branch .LBB29_4
.LBB29_3:                               ;   in Loop: Header=BB29_4 Depth=1
	s_or_b32 exec_lo, exec_lo, s10
	v_add_nc_u32_e32 v2, 1, v2
	v_add_nc_u64_e32 v[4:5], 8, v[4:5]
	v_add_nc_u64_e32 v[6:7], 16, v[6:7]
	s_delay_alu instid0(VALU_DEP_3) | instskip(SKIP_1) | instid1(SALU_CYCLE_1)
	v_cmp_ge_i32_e32 vcc_lo, v2, v10
	s_or_b32 s4, vcc_lo, s4
	s_and_not1_b32 exec_lo, exec_lo, s4
	s_cbranch_execz .LBB29_17
.LBB29_4:                               ; =>This Inner Loop Header: Depth=1
	global_load_b64 v[8:9], v[4:5], off
	s_and_b32 vcc_lo, exec_lo, s2
	s_mov_b32 s10, -1
                                        ; implicit-def: $sgpr5
	s_wait_loadcnt 0x0
	v_sub_nc_u64_e64 v[8:9], v[8:9], s[8:9]
	s_cbranch_vccz .LBB29_10
; %bb.5:                                ;   in Loop: Header=BB29_4 Depth=1
	s_and_b32 vcc_lo, exec_lo, s3
                                        ; implicit-def: $sgpr5
	s_cbranch_vccz .LBB29_7
; %bb.6:                                ;   in Loop: Header=BB29_4 Depth=1
	s_delay_alu instid0(VALU_DEP_1)
	v_cmp_ge_i64_e64 s5, v[8:9], v[0:1]
	s_mov_b32 s10, 0
.LBB29_7:                               ;   in Loop: Header=BB29_4 Depth=1
	s_delay_alu instid0(SALU_CYCLE_1)
	s_and_not1_b32 vcc_lo, exec_lo, s10
	s_cbranch_vccnz .LBB29_9
; %bb.8:                                ;   in Loop: Header=BB29_4 Depth=1
	s_delay_alu instid0(VALU_DEP_1) | instskip(SKIP_2) | instid1(SALU_CYCLE_1)
	v_cmp_gt_i64_e32 vcc_lo, v[8:9], v[0:1]
	s_and_not1_b32 s5, s5, exec_lo
	s_and_b32 s10, vcc_lo, exec_lo
	s_or_b32 s5, s5, s10
.LBB29_9:                               ;   in Loop: Header=BB29_4 Depth=1
	s_mov_b32 s10, 0
.LBB29_10:                              ;   in Loop: Header=BB29_4 Depth=1
	s_delay_alu instid0(SALU_CYCLE_1)
	s_and_not1_b32 vcc_lo, exec_lo, s10
	s_cbranch_vccnz .LBB29_15
; %bb.11:                               ;   in Loop: Header=BB29_4 Depth=1
	s_and_b32 vcc_lo, exec_lo, s3
	s_mov_b32 s10, -1
                                        ; implicit-def: $sgpr5
	s_cbranch_vccz .LBB29_13
; %bb.12:                               ;   in Loop: Header=BB29_4 Depth=1
	v_cmp_le_i64_e64 s5, v[8:9], v[0:1]
	s_mov_b32 s10, 0
.LBB29_13:                              ;   in Loop: Header=BB29_4 Depth=1
	s_delay_alu instid0(SALU_CYCLE_1)
	s_and_not1_b32 vcc_lo, exec_lo, s10
	s_cbranch_vccnz .LBB29_15
; %bb.14:                               ;   in Loop: Header=BB29_4 Depth=1
	v_cmp_lt_i64_e32 vcc_lo, v[8:9], v[0:1]
	s_and_not1_b32 s5, s5, exec_lo
	s_and_b32 s10, vcc_lo, exec_lo
	s_delay_alu instid0(SALU_CYCLE_1)
	s_or_b32 s5, s5, s10
.LBB29_15:                              ;   in Loop: Header=BB29_4 Depth=1
	s_wait_xcnt 0x0
	s_and_saveexec_b32 s10, s5
	s_cbranch_execz .LBB29_3
; %bb.16:                               ;   in Loop: Header=BB29_4 Depth=1
	global_load_b128 v[12:15], v[6:7], off
	v_add_nc_u64_e32 v[8:9], s[0:1], v[8:9]
	v_add_nc_u32_e32 v3, 1, v11
	global_store_b64 v11, v[8:9], s[6:7] scale_offset
	s_wait_loadcnt 0x0
	global_store_b128 v11, v[12:15], s[12:13] scale_offset
	s_wait_xcnt 0x0
	v_mov_b32_e32 v11, v3
	s_branch .LBB29_3
.LBB29_17:
	s_endpgm
	.section	.rodata,"a",@progbits
	.p2align	6, 0x0
	.amdhsa_kernel _ZN9rocsparseL28internal_extract_fill_kernelILj1024E21rocsparse_complex_numIdEilEEvT2_PKT1_PKS3_PKT0_21rocsparse_index_base_b20rocsparse_diag_type_S6_PS3_PS9_SC_
		.amdhsa_group_segment_fixed_size 0
		.amdhsa_private_segment_fixed_size 0
		.amdhsa_kernarg_size 336
		.amdhsa_user_sgpr_count 2
		.amdhsa_user_sgpr_dispatch_ptr 0
		.amdhsa_user_sgpr_queue_ptr 0
		.amdhsa_user_sgpr_kernarg_segment_ptr 1
		.amdhsa_user_sgpr_dispatch_id 0
		.amdhsa_user_sgpr_kernarg_preload_length 0
		.amdhsa_user_sgpr_kernarg_preload_offset 0
		.amdhsa_user_sgpr_private_segment_size 0
		.amdhsa_wavefront_size32 1
		.amdhsa_uses_dynamic_stack 0
		.amdhsa_enable_private_segment 0
		.amdhsa_system_sgpr_workgroup_id_x 1
		.amdhsa_system_sgpr_workgroup_id_y 0
		.amdhsa_system_sgpr_workgroup_id_z 0
		.amdhsa_system_sgpr_workgroup_info 0
		.amdhsa_system_vgpr_workitem_id 0
		.amdhsa_next_free_vgpr 16
		.amdhsa_next_free_sgpr 20
		.amdhsa_named_barrier_count 0
		.amdhsa_reserve_vcc 1
		.amdhsa_float_round_mode_32 0
		.amdhsa_float_round_mode_16_64 0
		.amdhsa_float_denorm_mode_32 3
		.amdhsa_float_denorm_mode_16_64 3
		.amdhsa_fp16_overflow 0
		.amdhsa_memory_ordered 1
		.amdhsa_forward_progress 1
		.amdhsa_inst_pref_size 5
		.amdhsa_round_robin_scheduling 0
		.amdhsa_exception_fp_ieee_invalid_op 0
		.amdhsa_exception_fp_denorm_src 0
		.amdhsa_exception_fp_ieee_div_zero 0
		.amdhsa_exception_fp_ieee_overflow 0
		.amdhsa_exception_fp_ieee_underflow 0
		.amdhsa_exception_fp_ieee_inexact 0
		.amdhsa_exception_int_div_zero 0
	.end_amdhsa_kernel
	.section	.text._ZN9rocsparseL28internal_extract_fill_kernelILj1024E21rocsparse_complex_numIdEilEEvT2_PKT1_PKS3_PKT0_21rocsparse_index_base_b20rocsparse_diag_type_S6_PS3_PS9_SC_,"axG",@progbits,_ZN9rocsparseL28internal_extract_fill_kernelILj1024E21rocsparse_complex_numIdEilEEvT2_PKT1_PKS3_PKT0_21rocsparse_index_base_b20rocsparse_diag_type_S6_PS3_PS9_SC_,comdat
.Lfunc_end29:
	.size	_ZN9rocsparseL28internal_extract_fill_kernelILj1024E21rocsparse_complex_numIdEilEEvT2_PKT1_PKS3_PKT0_21rocsparse_index_base_b20rocsparse_diag_type_S6_PS3_PS9_SC_, .Lfunc_end29-_ZN9rocsparseL28internal_extract_fill_kernelILj1024E21rocsparse_complex_numIdEilEEvT2_PKT1_PKS3_PKT0_21rocsparse_index_base_b20rocsparse_diag_type_S6_PS3_PS9_SC_
                                        ; -- End function
	.set _ZN9rocsparseL28internal_extract_fill_kernelILj1024E21rocsparse_complex_numIdEilEEvT2_PKT1_PKS3_PKT0_21rocsparse_index_base_b20rocsparse_diag_type_S6_PS3_PS9_SC_.num_vgpr, 16
	.set _ZN9rocsparseL28internal_extract_fill_kernelILj1024E21rocsparse_complex_numIdEilEEvT2_PKT1_PKS3_PKT0_21rocsparse_index_base_b20rocsparse_diag_type_S6_PS3_PS9_SC_.num_agpr, 0
	.set _ZN9rocsparseL28internal_extract_fill_kernelILj1024E21rocsparse_complex_numIdEilEEvT2_PKT1_PKS3_PKT0_21rocsparse_index_base_b20rocsparse_diag_type_S6_PS3_PS9_SC_.numbered_sgpr, 20
	.set _ZN9rocsparseL28internal_extract_fill_kernelILj1024E21rocsparse_complex_numIdEilEEvT2_PKT1_PKS3_PKT0_21rocsparse_index_base_b20rocsparse_diag_type_S6_PS3_PS9_SC_.num_named_barrier, 0
	.set _ZN9rocsparseL28internal_extract_fill_kernelILj1024E21rocsparse_complex_numIdEilEEvT2_PKT1_PKS3_PKT0_21rocsparse_index_base_b20rocsparse_diag_type_S6_PS3_PS9_SC_.private_seg_size, 0
	.set _ZN9rocsparseL28internal_extract_fill_kernelILj1024E21rocsparse_complex_numIdEilEEvT2_PKT1_PKS3_PKT0_21rocsparse_index_base_b20rocsparse_diag_type_S6_PS3_PS9_SC_.uses_vcc, 1
	.set _ZN9rocsparseL28internal_extract_fill_kernelILj1024E21rocsparse_complex_numIdEilEEvT2_PKT1_PKS3_PKT0_21rocsparse_index_base_b20rocsparse_diag_type_S6_PS3_PS9_SC_.uses_flat_scratch, 0
	.set _ZN9rocsparseL28internal_extract_fill_kernelILj1024E21rocsparse_complex_numIdEilEEvT2_PKT1_PKS3_PKT0_21rocsparse_index_base_b20rocsparse_diag_type_S6_PS3_PS9_SC_.has_dyn_sized_stack, 0
	.set _ZN9rocsparseL28internal_extract_fill_kernelILj1024E21rocsparse_complex_numIdEilEEvT2_PKT1_PKS3_PKT0_21rocsparse_index_base_b20rocsparse_diag_type_S6_PS3_PS9_SC_.has_recursion, 0
	.set _ZN9rocsparseL28internal_extract_fill_kernelILj1024E21rocsparse_complex_numIdEilEEvT2_PKT1_PKS3_PKT0_21rocsparse_index_base_b20rocsparse_diag_type_S6_PS3_PS9_SC_.has_indirect_call, 0
	.section	.AMDGPU.csdata,"",@progbits
; Kernel info:
; codeLenInByte = 572
; TotalNumSgprs: 22
; NumVgprs: 16
; ScratchSize: 0
; MemoryBound: 0
; FloatMode: 240
; IeeeMode: 1
; LDSByteSize: 0 bytes/workgroup (compile time only)
; SGPRBlocks: 0
; VGPRBlocks: 0
; NumSGPRsForWavesPerEU: 22
; NumVGPRsForWavesPerEU: 16
; NamedBarCnt: 0
; Occupancy: 16
; WaveLimiterHint : 0
; COMPUTE_PGM_RSRC2:SCRATCH_EN: 0
; COMPUTE_PGM_RSRC2:USER_SGPR: 2
; COMPUTE_PGM_RSRC2:TRAP_HANDLER: 0
; COMPUTE_PGM_RSRC2:TGID_X_EN: 1
; COMPUTE_PGM_RSRC2:TGID_Y_EN: 0
; COMPUTE_PGM_RSRC2:TGID_Z_EN: 0
; COMPUTE_PGM_RSRC2:TIDIG_COMP_CNT: 0
	.section	.text._ZN9rocsparseL28internal_extract_fill_kernelILj1024E21rocsparse_complex_numIdEliEEvT2_PKT1_PKS3_PKT0_21rocsparse_index_base_b20rocsparse_diag_type_S6_PS3_PS9_SC_,"axG",@progbits,_ZN9rocsparseL28internal_extract_fill_kernelILj1024E21rocsparse_complex_numIdEliEEvT2_PKT1_PKS3_PKT0_21rocsparse_index_base_b20rocsparse_diag_type_S6_PS3_PS9_SC_,comdat
	.globl	_ZN9rocsparseL28internal_extract_fill_kernelILj1024E21rocsparse_complex_numIdEliEEvT2_PKT1_PKS3_PKT0_21rocsparse_index_base_b20rocsparse_diag_type_S6_PS3_PS9_SC_ ; -- Begin function _ZN9rocsparseL28internal_extract_fill_kernelILj1024E21rocsparse_complex_numIdEliEEvT2_PKT1_PKS3_PKT0_21rocsparse_index_base_b20rocsparse_diag_type_S6_PS3_PS9_SC_
	.p2align	8
	.type	_ZN9rocsparseL28internal_extract_fill_kernelILj1024E21rocsparse_complex_numIdEliEEvT2_PKT1_PKS3_PKT0_21rocsparse_index_base_b20rocsparse_diag_type_S6_PS3_PS9_SC_,@function
_ZN9rocsparseL28internal_extract_fill_kernelILj1024E21rocsparse_complex_numIdEliEEvT2_PKT1_PKS3_PKT0_21rocsparse_index_base_b20rocsparse_diag_type_S6_PS3_PS9_SC_: ; @_ZN9rocsparseL28internal_extract_fill_kernelILj1024E21rocsparse_complex_numIdEliEEvT2_PKT1_PKS3_PKT0_21rocsparse_index_base_b20rocsparse_diag_type_S6_PS3_PS9_SC_
; %bb.0:
	s_clause 0x1
	s_load_b32 s2, s[0:1], 0x0
	s_load_b32 s4, s[0:1], 0x5c
	s_bfe_u32 s3, ttmp6, 0x4000c
	s_and_b32 s5, ttmp6, 15
	s_add_co_i32 s3, s3, 1
	s_getreg_b32 s6, hwreg(HW_REG_IB_STS2, 6, 4)
	s_mul_i32 s7, ttmp9, s3
	v_mov_b32_e32 v5, 0
	s_add_co_i32 s5, s5, s7
	s_wait_kmcnt 0x0
	s_ashr_i32 s3, s2, 31
	s_and_b32 s4, s4, 0xffff
	s_cmp_eq_u32 s6, 0
	s_cselect_b32 s5, ttmp9, s5
	s_delay_alu instid0(SALU_CYCLE_1) | instskip(NEXT) | instid1(VALU_DEP_1)
	v_mad_u32 v4, s5, s4, v0
	v_cmp_gt_i64_e32 vcc_lo, s[2:3], v[4:5]
	s_and_saveexec_b32 s2, vcc_lo
	s_cbranch_execz .LBB30_17
; %bb.1:
	s_load_b64 s[2:3], s[0:1], 0x8
	s_wait_kmcnt 0x0
	v_lshl_add_u64 v[0:1], v[4:5], 3, s[2:3]
	global_load_b128 v[0:3], v[0:1], off
	s_wait_loadcnt 0x0
	v_cmp_lt_i64_e32 vcc_lo, v[0:1], v[2:3]
	s_and_b32 exec_lo, exec_lo, vcc_lo
	s_cbranch_execz .LBB30_17
; %bb.2:
	s_load_b128 s[4:7], s[0:1], 0x30
	v_lshlrev_b64_e32 v[10:11], 2, v[0:1]
	s_wait_kmcnt 0x0
	v_lshl_add_u64 v[6:7], v[4:5], 3, s[4:5]
	global_load_b64 v[8:9], v[6:7], off
	s_clause 0x2
	s_load_b96 s[8:10], s[0:1], 0x20
	s_load_b96 s[12:14], s[0:1], 0x40
	s_load_b128 s[16:19], s[0:1], 0x10
	v_lshlrev_b64_e32 v[6:7], 4, v[0:1]
	s_wait_xcnt 0x0
	s_mov_b32 s1, 0
	s_wait_kmcnt 0x0
	s_bitcmp1_b32 s9, 0
	s_cselect_b32 s0, -1, 0
	s_delay_alu instid0(SALU_CYCLE_1)
	s_xor_b32 s2, s0, -1
	s_cmp_lg_u32 s10, 1
	s_mov_b32 s0, s8
	s_cselect_b32 s3, -1, 0
	s_lshl_b64 s[4:5], s[0:1], 4
	s_lshl_b64 s[10:11], s[0:1], 2
	v_sub_nc_u64_e64 v[6:7], v[6:7], s[4:5]
	v_sub_nc_u64_e64 v[12:13], v[10:11], s[10:11]
	s_mov_b32 s5, s1
	s_mov_b32 s4, s14
	v_sub_nc_u64_e64 v[2:3], v[2:3], s[0:1]
	v_sub_nc_u64_e64 v[0:1], v[0:1], s[0:1]
	s_delay_alu instid0(VALU_DEP_4)
	v_add_nc_u64_e32 v[6:7], s[18:19], v[6:7]
	s_wait_loadcnt 0x0
	v_sub_nc_u64_e64 v[10:11], v[8:9], s[4:5]
	v_add_nc_u64_e32 v[8:9], s[16:17], v[12:13]
	s_branch .LBB30_4
.LBB30_3:                               ;   in Loop: Header=BB30_4 Depth=1
	s_wait_xcnt 0x0
	s_or_b32 exec_lo, exec_lo, s4
	v_add_nc_u64_e32 v[0:1], 1, v[0:1]
	v_add_nc_u64_e32 v[6:7], 16, v[6:7]
	;; [unrolled: 1-line block ×3, first 2 shown]
	s_delay_alu instid0(VALU_DEP_3) | instskip(SKIP_1) | instid1(SALU_CYCLE_1)
	v_cmp_ge_i64_e32 vcc_lo, v[0:1], v[2:3]
	s_or_b32 s1, vcc_lo, s1
	s_and_not1_b32 exec_lo, exec_lo, s1
	s_cbranch_execz .LBB30_17
.LBB30_4:                               ; =>This Inner Loop Header: Depth=1
	global_load_b32 v5, v[8:9], off
	s_and_b32 vcc_lo, exec_lo, s2
	s_mov_b32 s4, -1
                                        ; implicit-def: $sgpr0
	s_wait_loadcnt 0x0
	v_subrev_nc_u32_e32 v5, s8, v5
	s_cbranch_vccz .LBB30_10
; %bb.5:                                ;   in Loop: Header=BB30_4 Depth=1
	s_and_b32 vcc_lo, exec_lo, s3
                                        ; implicit-def: $sgpr0
	s_cbranch_vccz .LBB30_7
; %bb.6:                                ;   in Loop: Header=BB30_4 Depth=1
	s_delay_alu instid0(VALU_DEP_1)
	v_cmp_le_i32_e64 s0, v4, v5
	s_mov_b32 s4, 0
.LBB30_7:                               ;   in Loop: Header=BB30_4 Depth=1
	s_delay_alu instid0(SALU_CYCLE_1)
	s_and_not1_b32 vcc_lo, exec_lo, s4
	s_cbranch_vccnz .LBB30_9
; %bb.8:                                ;   in Loop: Header=BB30_4 Depth=1
	v_cmp_lt_i32_e32 vcc_lo, v4, v5
	s_and_not1_b32 s0, s0, exec_lo
	s_and_b32 s4, vcc_lo, exec_lo
	s_delay_alu instid0(SALU_CYCLE_1)
	s_or_b32 s0, s0, s4
.LBB30_9:                               ;   in Loop: Header=BB30_4 Depth=1
	s_mov_b32 s4, 0
.LBB30_10:                              ;   in Loop: Header=BB30_4 Depth=1
	s_delay_alu instid0(SALU_CYCLE_1)
	s_and_not1_b32 vcc_lo, exec_lo, s4
	s_cbranch_vccnz .LBB30_15
; %bb.11:                               ;   in Loop: Header=BB30_4 Depth=1
	s_and_b32 vcc_lo, exec_lo, s3
	s_mov_b32 s4, -1
                                        ; implicit-def: $sgpr0
	s_cbranch_vccz .LBB30_13
; %bb.12:                               ;   in Loop: Header=BB30_4 Depth=1
	v_cmp_ge_i32_e64 s0, v4, v5
	s_mov_b32 s4, 0
.LBB30_13:                              ;   in Loop: Header=BB30_4 Depth=1
	s_delay_alu instid0(SALU_CYCLE_1)
	s_and_not1_b32 vcc_lo, exec_lo, s4
	s_cbranch_vccnz .LBB30_15
; %bb.14:                               ;   in Loop: Header=BB30_4 Depth=1
	v_cmp_gt_i32_e32 vcc_lo, v4, v5
	s_and_not1_b32 s0, s0, exec_lo
	s_and_b32 s4, vcc_lo, exec_lo
	s_delay_alu instid0(SALU_CYCLE_1)
	s_or_b32 s0, s0, s4
.LBB30_15:                              ;   in Loop: Header=BB30_4 Depth=1
	s_wait_xcnt 0x0
	s_and_saveexec_b32 s4, s0
	s_cbranch_execz .LBB30_3
; %bb.16:                               ;   in Loop: Header=BB30_4 Depth=1
	global_load_b128 v[12:15], v[6:7], off
	v_add_nc_u64_e32 v[16:17], 1, v[10:11]
	v_lshl_add_u64 v[18:19], v[10:11], 2, s[6:7]
	v_lshl_add_u64 v[20:21], v[10:11], 4, s[12:13]
	v_add_nc_u32_e32 v5, s14, v5
	global_store_b32 v[18:19], v5, off
	s_wait_loadcnt 0x0
	global_store_b128 v[20:21], v[12:15], off
	v_mov_b64_e32 v[10:11], v[16:17]
	s_branch .LBB30_3
.LBB30_17:
	s_endpgm
	.section	.rodata,"a",@progbits
	.p2align	6, 0x0
	.amdhsa_kernel _ZN9rocsparseL28internal_extract_fill_kernelILj1024E21rocsparse_complex_numIdEliEEvT2_PKT1_PKS3_PKT0_21rocsparse_index_base_b20rocsparse_diag_type_S6_PS3_PS9_SC_
		.amdhsa_group_segment_fixed_size 0
		.amdhsa_private_segment_fixed_size 0
		.amdhsa_kernarg_size 336
		.amdhsa_user_sgpr_count 2
		.amdhsa_user_sgpr_dispatch_ptr 0
		.amdhsa_user_sgpr_queue_ptr 0
		.amdhsa_user_sgpr_kernarg_segment_ptr 1
		.amdhsa_user_sgpr_dispatch_id 0
		.amdhsa_user_sgpr_kernarg_preload_length 0
		.amdhsa_user_sgpr_kernarg_preload_offset 0
		.amdhsa_user_sgpr_private_segment_size 0
		.amdhsa_wavefront_size32 1
		.amdhsa_uses_dynamic_stack 0
		.amdhsa_enable_private_segment 0
		.amdhsa_system_sgpr_workgroup_id_x 1
		.amdhsa_system_sgpr_workgroup_id_y 0
		.amdhsa_system_sgpr_workgroup_id_z 0
		.amdhsa_system_sgpr_workgroup_info 0
		.amdhsa_system_vgpr_workitem_id 0
		.amdhsa_next_free_vgpr 22
		.amdhsa_next_free_sgpr 20
		.amdhsa_named_barrier_count 0
		.amdhsa_reserve_vcc 1
		.amdhsa_float_round_mode_32 0
		.amdhsa_float_round_mode_16_64 0
		.amdhsa_float_denorm_mode_32 3
		.amdhsa_float_denorm_mode_16_64 3
		.amdhsa_fp16_overflow 0
		.amdhsa_memory_ordered 1
		.amdhsa_forward_progress 1
		.amdhsa_inst_pref_size 5
		.amdhsa_round_robin_scheduling 0
		.amdhsa_exception_fp_ieee_invalid_op 0
		.amdhsa_exception_fp_denorm_src 0
		.amdhsa_exception_fp_ieee_div_zero 0
		.amdhsa_exception_fp_ieee_overflow 0
		.amdhsa_exception_fp_ieee_underflow 0
		.amdhsa_exception_fp_ieee_inexact 0
		.amdhsa_exception_int_div_zero 0
	.end_amdhsa_kernel
	.section	.text._ZN9rocsparseL28internal_extract_fill_kernelILj1024E21rocsparse_complex_numIdEliEEvT2_PKT1_PKS3_PKT0_21rocsparse_index_base_b20rocsparse_diag_type_S6_PS3_PS9_SC_,"axG",@progbits,_ZN9rocsparseL28internal_extract_fill_kernelILj1024E21rocsparse_complex_numIdEliEEvT2_PKT1_PKS3_PKT0_21rocsparse_index_base_b20rocsparse_diag_type_S6_PS3_PS9_SC_,comdat
.Lfunc_end30:
	.size	_ZN9rocsparseL28internal_extract_fill_kernelILj1024E21rocsparse_complex_numIdEliEEvT2_PKT1_PKS3_PKT0_21rocsparse_index_base_b20rocsparse_diag_type_S6_PS3_PS9_SC_, .Lfunc_end30-_ZN9rocsparseL28internal_extract_fill_kernelILj1024E21rocsparse_complex_numIdEliEEvT2_PKT1_PKS3_PKT0_21rocsparse_index_base_b20rocsparse_diag_type_S6_PS3_PS9_SC_
                                        ; -- End function
	.set _ZN9rocsparseL28internal_extract_fill_kernelILj1024E21rocsparse_complex_numIdEliEEvT2_PKT1_PKS3_PKT0_21rocsparse_index_base_b20rocsparse_diag_type_S6_PS3_PS9_SC_.num_vgpr, 22
	.set _ZN9rocsparseL28internal_extract_fill_kernelILj1024E21rocsparse_complex_numIdEliEEvT2_PKT1_PKS3_PKT0_21rocsparse_index_base_b20rocsparse_diag_type_S6_PS3_PS9_SC_.num_agpr, 0
	.set _ZN9rocsparseL28internal_extract_fill_kernelILj1024E21rocsparse_complex_numIdEliEEvT2_PKT1_PKS3_PKT0_21rocsparse_index_base_b20rocsparse_diag_type_S6_PS3_PS9_SC_.numbered_sgpr, 20
	.set _ZN9rocsparseL28internal_extract_fill_kernelILj1024E21rocsparse_complex_numIdEliEEvT2_PKT1_PKS3_PKT0_21rocsparse_index_base_b20rocsparse_diag_type_S6_PS3_PS9_SC_.num_named_barrier, 0
	.set _ZN9rocsparseL28internal_extract_fill_kernelILj1024E21rocsparse_complex_numIdEliEEvT2_PKT1_PKS3_PKT0_21rocsparse_index_base_b20rocsparse_diag_type_S6_PS3_PS9_SC_.private_seg_size, 0
	.set _ZN9rocsparseL28internal_extract_fill_kernelILj1024E21rocsparse_complex_numIdEliEEvT2_PKT1_PKS3_PKT0_21rocsparse_index_base_b20rocsparse_diag_type_S6_PS3_PS9_SC_.uses_vcc, 1
	.set _ZN9rocsparseL28internal_extract_fill_kernelILj1024E21rocsparse_complex_numIdEliEEvT2_PKT1_PKS3_PKT0_21rocsparse_index_base_b20rocsparse_diag_type_S6_PS3_PS9_SC_.uses_flat_scratch, 0
	.set _ZN9rocsparseL28internal_extract_fill_kernelILj1024E21rocsparse_complex_numIdEliEEvT2_PKT1_PKS3_PKT0_21rocsparse_index_base_b20rocsparse_diag_type_S6_PS3_PS9_SC_.has_dyn_sized_stack, 0
	.set _ZN9rocsparseL28internal_extract_fill_kernelILj1024E21rocsparse_complex_numIdEliEEvT2_PKT1_PKS3_PKT0_21rocsparse_index_base_b20rocsparse_diag_type_S6_PS3_PS9_SC_.has_recursion, 0
	.set _ZN9rocsparseL28internal_extract_fill_kernelILj1024E21rocsparse_complex_numIdEliEEvT2_PKT1_PKS3_PKT0_21rocsparse_index_base_b20rocsparse_diag_type_S6_PS3_PS9_SC_.has_indirect_call, 0
	.section	.AMDGPU.csdata,"",@progbits
; Kernel info:
; codeLenInByte = 620
; TotalNumSgprs: 22
; NumVgprs: 22
; ScratchSize: 0
; MemoryBound: 0
; FloatMode: 240
; IeeeMode: 1
; LDSByteSize: 0 bytes/workgroup (compile time only)
; SGPRBlocks: 0
; VGPRBlocks: 1
; NumSGPRsForWavesPerEU: 22
; NumVGPRsForWavesPerEU: 22
; NamedBarCnt: 0
; Occupancy: 16
; WaveLimiterHint : 0
; COMPUTE_PGM_RSRC2:SCRATCH_EN: 0
; COMPUTE_PGM_RSRC2:USER_SGPR: 2
; COMPUTE_PGM_RSRC2:TRAP_HANDLER: 0
; COMPUTE_PGM_RSRC2:TGID_X_EN: 1
; COMPUTE_PGM_RSRC2:TGID_Y_EN: 0
; COMPUTE_PGM_RSRC2:TGID_Z_EN: 0
; COMPUTE_PGM_RSRC2:TIDIG_COMP_CNT: 0
	.section	.text._ZN9rocsparseL28internal_extract_fill_kernelILj1024E21rocsparse_complex_numIdEllEEvT2_PKT1_PKS3_PKT0_21rocsparse_index_base_b20rocsparse_diag_type_S6_PS3_PS9_SC_,"axG",@progbits,_ZN9rocsparseL28internal_extract_fill_kernelILj1024E21rocsparse_complex_numIdEllEEvT2_PKT1_PKS3_PKT0_21rocsparse_index_base_b20rocsparse_diag_type_S6_PS3_PS9_SC_,comdat
	.globl	_ZN9rocsparseL28internal_extract_fill_kernelILj1024E21rocsparse_complex_numIdEllEEvT2_PKT1_PKS3_PKT0_21rocsparse_index_base_b20rocsparse_diag_type_S6_PS3_PS9_SC_ ; -- Begin function _ZN9rocsparseL28internal_extract_fill_kernelILj1024E21rocsparse_complex_numIdEllEEvT2_PKT1_PKS3_PKT0_21rocsparse_index_base_b20rocsparse_diag_type_S6_PS3_PS9_SC_
	.p2align	8
	.type	_ZN9rocsparseL28internal_extract_fill_kernelILj1024E21rocsparse_complex_numIdEllEEvT2_PKT1_PKS3_PKT0_21rocsparse_index_base_b20rocsparse_diag_type_S6_PS3_PS9_SC_,@function
_ZN9rocsparseL28internal_extract_fill_kernelILj1024E21rocsparse_complex_numIdEllEEvT2_PKT1_PKS3_PKT0_21rocsparse_index_base_b20rocsparse_diag_type_S6_PS3_PS9_SC_: ; @_ZN9rocsparseL28internal_extract_fill_kernelILj1024E21rocsparse_complex_numIdEllEEvT2_PKT1_PKS3_PKT0_21rocsparse_index_base_b20rocsparse_diag_type_S6_PS3_PS9_SC_
; %bb.0:
	s_clause 0x1
	s_load_b32 s4, s[0:1], 0x5c
	s_load_b64 s[2:3], s[0:1], 0x0
	s_bfe_u32 s5, ttmp6, 0x4000c
	s_and_b32 s6, ttmp6, 15
	s_add_co_i32 s5, s5, 1
	s_getreg_b32 s7, hwreg(HW_REG_IB_STS2, 6, 4)
	s_mul_i32 s5, ttmp9, s5
	v_mov_b32_e32 v5, 0
	s_add_co_i32 s6, s6, s5
	s_wait_kmcnt 0x0
	s_and_b32 s4, s4, 0xffff
	s_cmp_eq_u32 s7, 0
	s_cselect_b32 s5, ttmp9, s6
	s_delay_alu instid0(SALU_CYCLE_1) | instskip(NEXT) | instid1(VALU_DEP_1)
	v_mad_u32 v4, s5, s4, v0
	v_cmp_gt_i64_e32 vcc_lo, s[2:3], v[4:5]
	s_and_saveexec_b32 s2, vcc_lo
	s_cbranch_execz .LBB31_17
; %bb.1:
	s_load_b64 s[2:3], s[0:1], 0x8
	s_wait_kmcnt 0x0
	v_lshl_add_u64 v[0:1], v[4:5], 3, s[2:3]
	global_load_b128 v[0:3], v[0:1], off
	s_wait_loadcnt 0x0
	v_cmp_lt_i64_e32 vcc_lo, v[0:1], v[2:3]
	s_and_b32 exec_lo, exec_lo, vcc_lo
	s_cbranch_execz .LBB31_17
; %bb.2:
	s_load_b128 s[4:7], s[0:1], 0x30
	v_lshlrev_b64_e32 v[10:11], 3, v[0:1]
	s_wait_kmcnt 0x0
	v_lshl_add_u64 v[6:7], v[4:5], 3, s[4:5]
	global_load_b64 v[8:9], v[6:7], off
	s_clause 0x2
	s_load_b96 s[16:18], s[0:1], 0x20
	s_load_b96 s[8:10], s[0:1], 0x40
	s_load_b128 s[12:15], s[0:1], 0x10
	v_lshlrev_b64_e32 v[6:7], 4, v[0:1]
	s_wait_xcnt 0x0
	s_mov_b32 s1, 0
	s_delay_alu instid0(SALU_CYCLE_1)
	s_mov_b32 s3, s1
	s_wait_kmcnt 0x0
	s_bitcmp1_b32 s17, 0
	s_mov_b32 s2, s16
	s_cselect_b32 s0, -1, 0
	v_sub_nc_u64_e64 v[2:3], v[2:3], s[2:3]
	s_xor_b32 s4, s0, -1
	s_cmp_lg_u32 s18, 1
	s_mov_b32 s0, s10
	s_cselect_b32 s5, -1, 0
	s_lshl_b64 s[16:17], s[2:3], 4
	s_lshl_b64 s[18:19], s[2:3], 3
	v_sub_nc_u64_e64 v[6:7], v[6:7], s[16:17]
	v_sub_nc_u64_e64 v[12:13], v[10:11], s[18:19]
	;; [unrolled: 1-line block ×3, first 2 shown]
	s_mov_b32 s10, s1
	s_delay_alu instid0(VALU_DEP_3) | instskip(SKIP_2) | instid1(VALU_DEP_4)
	v_add_nc_u64_e32 v[6:7], s[14:15], v[6:7]
	s_wait_loadcnt 0x0
	v_sub_nc_u64_e64 v[10:11], v[8:9], s[0:1]
	v_add_nc_u64_e32 v[8:9], s[12:13], v[12:13]
	s_branch .LBB31_4
.LBB31_3:                               ;   in Loop: Header=BB31_4 Depth=1
	s_wait_xcnt 0x0
	s_or_b32 exec_lo, exec_lo, s12
	v_add_nc_u64_e32 v[0:1], 1, v[0:1]
	v_add_nc_u64_e32 v[6:7], 16, v[6:7]
	;; [unrolled: 1-line block ×3, first 2 shown]
	s_delay_alu instid0(VALU_DEP_3) | instskip(SKIP_1) | instid1(SALU_CYCLE_1)
	v_cmp_ge_i64_e32 vcc_lo, v[0:1], v[2:3]
	s_or_b32 s10, vcc_lo, s10
	s_and_not1_b32 exec_lo, exec_lo, s10
	s_cbranch_execz .LBB31_17
.LBB31_4:                               ; =>This Inner Loop Header: Depth=1
	global_load_b64 v[12:13], v[8:9], off
	s_and_b32 vcc_lo, exec_lo, s4
	s_mov_b32 s12, -1
                                        ; implicit-def: $sgpr11
	s_wait_loadcnt 0x0
	v_sub_nc_u64_e64 v[12:13], v[12:13], s[2:3]
	s_cbranch_vccz .LBB31_10
; %bb.5:                                ;   in Loop: Header=BB31_4 Depth=1
	s_and_b32 vcc_lo, exec_lo, s5
                                        ; implicit-def: $sgpr11
	s_cbranch_vccz .LBB31_7
; %bb.6:                                ;   in Loop: Header=BB31_4 Depth=1
	s_delay_alu instid0(VALU_DEP_1)
	v_cmp_ge_i64_e64 s11, v[12:13], v[4:5]
	s_mov_b32 s12, 0
.LBB31_7:                               ;   in Loop: Header=BB31_4 Depth=1
	s_delay_alu instid0(SALU_CYCLE_1)
	s_and_not1_b32 vcc_lo, exec_lo, s12
	s_cbranch_vccnz .LBB31_9
; %bb.8:                                ;   in Loop: Header=BB31_4 Depth=1
	s_delay_alu instid0(VALU_DEP_1) | instskip(SKIP_2) | instid1(SALU_CYCLE_1)
	v_cmp_gt_i64_e32 vcc_lo, v[12:13], v[4:5]
	s_and_not1_b32 s11, s11, exec_lo
	s_and_b32 s12, vcc_lo, exec_lo
	s_or_b32 s11, s11, s12
.LBB31_9:                               ;   in Loop: Header=BB31_4 Depth=1
	s_mov_b32 s12, 0
.LBB31_10:                              ;   in Loop: Header=BB31_4 Depth=1
	s_delay_alu instid0(SALU_CYCLE_1)
	s_and_not1_b32 vcc_lo, exec_lo, s12
	s_cbranch_vccnz .LBB31_15
; %bb.11:                               ;   in Loop: Header=BB31_4 Depth=1
	s_and_b32 vcc_lo, exec_lo, s5
	s_mov_b32 s12, -1
                                        ; implicit-def: $sgpr11
	s_cbranch_vccz .LBB31_13
; %bb.12:                               ;   in Loop: Header=BB31_4 Depth=1
	v_cmp_le_i64_e64 s11, v[12:13], v[4:5]
	s_mov_b32 s12, 0
.LBB31_13:                              ;   in Loop: Header=BB31_4 Depth=1
	s_delay_alu instid0(SALU_CYCLE_1)
	s_and_not1_b32 vcc_lo, exec_lo, s12
	s_cbranch_vccnz .LBB31_15
; %bb.14:                               ;   in Loop: Header=BB31_4 Depth=1
	v_cmp_lt_i64_e32 vcc_lo, v[12:13], v[4:5]
	s_and_not1_b32 s11, s11, exec_lo
	s_and_b32 s12, vcc_lo, exec_lo
	s_delay_alu instid0(SALU_CYCLE_1)
	s_or_b32 s11, s11, s12
.LBB31_15:                              ;   in Loop: Header=BB31_4 Depth=1
	s_wait_xcnt 0x0
	s_and_saveexec_b32 s12, s11
	s_cbranch_execz .LBB31_3
; %bb.16:                               ;   in Loop: Header=BB31_4 Depth=1
	global_load_b128 v[14:17], v[6:7], off
	v_add_nc_u64_e32 v[18:19], 1, v[10:11]
	v_add_nc_u64_e32 v[12:13], s[0:1], v[12:13]
	v_lshl_add_u64 v[20:21], v[10:11], 3, s[6:7]
	v_lshl_add_u64 v[22:23], v[10:11], 4, s[8:9]
	global_store_b64 v[20:21], v[12:13], off
	s_wait_loadcnt 0x0
	global_store_b128 v[22:23], v[14:17], off
	v_mov_b64_e32 v[10:11], v[18:19]
	s_branch .LBB31_3
.LBB31_17:
	s_endpgm
	.section	.rodata,"a",@progbits
	.p2align	6, 0x0
	.amdhsa_kernel _ZN9rocsparseL28internal_extract_fill_kernelILj1024E21rocsparse_complex_numIdEllEEvT2_PKT1_PKS3_PKT0_21rocsparse_index_base_b20rocsparse_diag_type_S6_PS3_PS9_SC_
		.amdhsa_group_segment_fixed_size 0
		.amdhsa_private_segment_fixed_size 0
		.amdhsa_kernarg_size 336
		.amdhsa_user_sgpr_count 2
		.amdhsa_user_sgpr_dispatch_ptr 0
		.amdhsa_user_sgpr_queue_ptr 0
		.amdhsa_user_sgpr_kernarg_segment_ptr 1
		.amdhsa_user_sgpr_dispatch_id 0
		.amdhsa_user_sgpr_kernarg_preload_length 0
		.amdhsa_user_sgpr_kernarg_preload_offset 0
		.amdhsa_user_sgpr_private_segment_size 0
		.amdhsa_wavefront_size32 1
		.amdhsa_uses_dynamic_stack 0
		.amdhsa_enable_private_segment 0
		.amdhsa_system_sgpr_workgroup_id_x 1
		.amdhsa_system_sgpr_workgroup_id_y 0
		.amdhsa_system_sgpr_workgroup_id_z 0
		.amdhsa_system_sgpr_workgroup_info 0
		.amdhsa_system_vgpr_workitem_id 0
		.amdhsa_next_free_vgpr 24
		.amdhsa_next_free_sgpr 20
		.amdhsa_named_barrier_count 0
		.amdhsa_reserve_vcc 1
		.amdhsa_float_round_mode_32 0
		.amdhsa_float_round_mode_16_64 0
		.amdhsa_float_denorm_mode_32 3
		.amdhsa_float_denorm_mode_16_64 3
		.amdhsa_fp16_overflow 0
		.amdhsa_memory_ordered 1
		.amdhsa_forward_progress 1
		.amdhsa_inst_pref_size 5
		.amdhsa_round_robin_scheduling 0
		.amdhsa_exception_fp_ieee_invalid_op 0
		.amdhsa_exception_fp_denorm_src 0
		.amdhsa_exception_fp_ieee_div_zero 0
		.amdhsa_exception_fp_ieee_overflow 0
		.amdhsa_exception_fp_ieee_underflow 0
		.amdhsa_exception_fp_ieee_inexact 0
		.amdhsa_exception_int_div_zero 0
	.end_amdhsa_kernel
	.section	.text._ZN9rocsparseL28internal_extract_fill_kernelILj1024E21rocsparse_complex_numIdEllEEvT2_PKT1_PKS3_PKT0_21rocsparse_index_base_b20rocsparse_diag_type_S6_PS3_PS9_SC_,"axG",@progbits,_ZN9rocsparseL28internal_extract_fill_kernelILj1024E21rocsparse_complex_numIdEllEEvT2_PKT1_PKS3_PKT0_21rocsparse_index_base_b20rocsparse_diag_type_S6_PS3_PS9_SC_,comdat
.Lfunc_end31:
	.size	_ZN9rocsparseL28internal_extract_fill_kernelILj1024E21rocsparse_complex_numIdEllEEvT2_PKT1_PKS3_PKT0_21rocsparse_index_base_b20rocsparse_diag_type_S6_PS3_PS9_SC_, .Lfunc_end31-_ZN9rocsparseL28internal_extract_fill_kernelILj1024E21rocsparse_complex_numIdEllEEvT2_PKT1_PKS3_PKT0_21rocsparse_index_base_b20rocsparse_diag_type_S6_PS3_PS9_SC_
                                        ; -- End function
	.set _ZN9rocsparseL28internal_extract_fill_kernelILj1024E21rocsparse_complex_numIdEllEEvT2_PKT1_PKS3_PKT0_21rocsparse_index_base_b20rocsparse_diag_type_S6_PS3_PS9_SC_.num_vgpr, 24
	.set _ZN9rocsparseL28internal_extract_fill_kernelILj1024E21rocsparse_complex_numIdEllEEvT2_PKT1_PKS3_PKT0_21rocsparse_index_base_b20rocsparse_diag_type_S6_PS3_PS9_SC_.num_agpr, 0
	.set _ZN9rocsparseL28internal_extract_fill_kernelILj1024E21rocsparse_complex_numIdEllEEvT2_PKT1_PKS3_PKT0_21rocsparse_index_base_b20rocsparse_diag_type_S6_PS3_PS9_SC_.numbered_sgpr, 20
	.set _ZN9rocsparseL28internal_extract_fill_kernelILj1024E21rocsparse_complex_numIdEllEEvT2_PKT1_PKS3_PKT0_21rocsparse_index_base_b20rocsparse_diag_type_S6_PS3_PS9_SC_.num_named_barrier, 0
	.set _ZN9rocsparseL28internal_extract_fill_kernelILj1024E21rocsparse_complex_numIdEllEEvT2_PKT1_PKS3_PKT0_21rocsparse_index_base_b20rocsparse_diag_type_S6_PS3_PS9_SC_.private_seg_size, 0
	.set _ZN9rocsparseL28internal_extract_fill_kernelILj1024E21rocsparse_complex_numIdEllEEvT2_PKT1_PKS3_PKT0_21rocsparse_index_base_b20rocsparse_diag_type_S6_PS3_PS9_SC_.uses_vcc, 1
	.set _ZN9rocsparseL28internal_extract_fill_kernelILj1024E21rocsparse_complex_numIdEllEEvT2_PKT1_PKS3_PKT0_21rocsparse_index_base_b20rocsparse_diag_type_S6_PS3_PS9_SC_.uses_flat_scratch, 0
	.set _ZN9rocsparseL28internal_extract_fill_kernelILj1024E21rocsparse_complex_numIdEllEEvT2_PKT1_PKS3_PKT0_21rocsparse_index_base_b20rocsparse_diag_type_S6_PS3_PS9_SC_.has_dyn_sized_stack, 0
	.set _ZN9rocsparseL28internal_extract_fill_kernelILj1024E21rocsparse_complex_numIdEllEEvT2_PKT1_PKS3_PKT0_21rocsparse_index_base_b20rocsparse_diag_type_S6_PS3_PS9_SC_.has_recursion, 0
	.set _ZN9rocsparseL28internal_extract_fill_kernelILj1024E21rocsparse_complex_numIdEllEEvT2_PKT1_PKS3_PKT0_21rocsparse_index_base_b20rocsparse_diag_type_S6_PS3_PS9_SC_.has_indirect_call, 0
	.section	.AMDGPU.csdata,"",@progbits
; Kernel info:
; codeLenInByte = 624
; TotalNumSgprs: 22
; NumVgprs: 24
; ScratchSize: 0
; MemoryBound: 0
; FloatMode: 240
; IeeeMode: 1
; LDSByteSize: 0 bytes/workgroup (compile time only)
; SGPRBlocks: 0
; VGPRBlocks: 1
; NumSGPRsForWavesPerEU: 22
; NumVGPRsForWavesPerEU: 24
; NamedBarCnt: 0
; Occupancy: 16
; WaveLimiterHint : 0
; COMPUTE_PGM_RSRC2:SCRATCH_EN: 0
; COMPUTE_PGM_RSRC2:USER_SGPR: 2
; COMPUTE_PGM_RSRC2:TRAP_HANDLER: 0
; COMPUTE_PGM_RSRC2:TGID_X_EN: 1
; COMPUTE_PGM_RSRC2:TGID_Y_EN: 0
; COMPUTE_PGM_RSRC2:TGID_Z_EN: 0
; COMPUTE_PGM_RSRC2:TIDIG_COMP_CNT: 0
	.section	.text._ZN9rocsparseL28internal_extract_fill_kernelILj1024EaiiEEvT2_PKT1_PKS1_PKT0_21rocsparse_index_base_b20rocsparse_diag_type_S4_PS1_PS7_SA_,"axG",@progbits,_ZN9rocsparseL28internal_extract_fill_kernelILj1024EaiiEEvT2_PKT1_PKS1_PKT0_21rocsparse_index_base_b20rocsparse_diag_type_S4_PS1_PS7_SA_,comdat
	.globl	_ZN9rocsparseL28internal_extract_fill_kernelILj1024EaiiEEvT2_PKT1_PKS1_PKT0_21rocsparse_index_base_b20rocsparse_diag_type_S4_PS1_PS7_SA_ ; -- Begin function _ZN9rocsparseL28internal_extract_fill_kernelILj1024EaiiEEvT2_PKT1_PKS1_PKT0_21rocsparse_index_base_b20rocsparse_diag_type_S4_PS1_PS7_SA_
	.p2align	8
	.type	_ZN9rocsparseL28internal_extract_fill_kernelILj1024EaiiEEvT2_PKT1_PKS1_PKT0_21rocsparse_index_base_b20rocsparse_diag_type_S4_PS1_PS7_SA_,@function
_ZN9rocsparseL28internal_extract_fill_kernelILj1024EaiiEEvT2_PKT1_PKS1_PKT0_21rocsparse_index_base_b20rocsparse_diag_type_S4_PS1_PS7_SA_: ; @_ZN9rocsparseL28internal_extract_fill_kernelILj1024EaiiEEvT2_PKT1_PKS1_PKT0_21rocsparse_index_base_b20rocsparse_diag_type_S4_PS1_PS7_SA_
; %bb.0:
	s_clause 0x1
	s_load_b32 s2, s[0:1], 0x5c
	s_load_b32 s3, s[0:1], 0x0
	s_bfe_u32 s4, ttmp6, 0x4000c
	s_and_b32 s5, ttmp6, 15
	s_add_co_i32 s4, s4, 1
	s_getreg_b32 s6, hwreg(HW_REG_IB_STS2, 6, 4)
	s_mul_i32 s4, ttmp9, s4
	s_delay_alu instid0(SALU_CYCLE_1) | instskip(SKIP_4) | instid1(SALU_CYCLE_1)
	s_add_co_i32 s5, s5, s4
	s_wait_kmcnt 0x0
	s_and_b32 s2, s2, 0xffff
	s_cmp_eq_u32 s6, 0
	s_cselect_b32 s4, ttmp9, s5
	v_mad_u32 v0, s4, s2, v0
	s_mov_b32 s2, exec_lo
	s_delay_alu instid0(VALU_DEP_1)
	v_cmpx_gt_i32_e64 s3, v0
	s_cbranch_execz .LBB32_17
; %bb.1:
	s_load_b64 s[2:3], s[0:1], 0x8
	v_ashrrev_i32_e32 v1, 31, v0
	s_wait_kmcnt 0x0
	s_delay_alu instid0(VALU_DEP_1)
	v_lshl_add_u64 v[2:3], v[0:1], 2, s[2:3]
	global_load_b64 v[4:5], v[2:3], off
	s_wait_loadcnt 0x0
	v_cmp_lt_i32_e32 vcc_lo, v4, v5
	s_and_b32 exec_lo, exec_lo, vcc_lo
	s_cbranch_execz .LBB32_17
; %bb.2:
	s_load_b128 s[4:7], s[0:1], 0x30
	s_mov_b32 s2, 0
	s_wait_kmcnt 0x0
	v_lshl_add_u64 v[2:3], v[0:1], 2, s[4:5]
	global_load_b32 v6, v[2:3], off
	s_clause 0x2
	s_load_b96 s[8:10], s[0:1], 0x20
	s_load_b128 s[16:19], s[0:1], 0x10
	s_load_b96 s[12:14], s[0:1], 0x40
	s_wait_kmcnt 0x0
	v_subrev_nc_u32_e32 v2, s8, v4
	s_bitcmp1_b32 s9, 0
	v_subrev_nc_u32_e32 v1, s8, v5
	s_cselect_b32 s0, -1, 0
	s_delay_alu instid0(VALU_DEP_2) | instskip(SKIP_3) | instid1(VALU_DEP_1)
	v_ashrrev_i32_e32 v3, 31, v2
	s_xor_b32 s0, s0, -1
	s_cmp_lg_u32 s10, 1
	s_cselect_b32 s1, -1, 0
	v_add_nc_u64_e32 v[4:5], s[18:19], v[2:3]
	s_wait_loadcnt 0x0
	v_subrev_nc_u32_e32 v8, s14, v6
	v_lshl_add_u64 v[6:7], v[2:3], 2, s[16:17]
	s_branch .LBB32_4
.LBB32_3:                               ;   in Loop: Header=BB32_4 Depth=1
	s_or_b32 exec_lo, exec_lo, s4
	v_add_nc_u32_e32 v2, 1, v2
	v_add_nc_u64_e32 v[6:7], 4, v[6:7]
	v_add_nc_u64_e32 v[4:5], 1, v[4:5]
	s_delay_alu instid0(VALU_DEP_3) | instskip(SKIP_1) | instid1(SALU_CYCLE_1)
	v_cmp_ge_i32_e32 vcc_lo, v2, v1
	s_or_b32 s2, vcc_lo, s2
	s_and_not1_b32 exec_lo, exec_lo, s2
	s_cbranch_execz .LBB32_17
.LBB32_4:                               ; =>This Inner Loop Header: Depth=1
	global_load_b32 v3, v[6:7], off
	s_and_b32 vcc_lo, exec_lo, s0
	s_mov_b32 s4, -1
                                        ; implicit-def: $sgpr3
	s_wait_loadcnt 0x0
	v_subrev_nc_u32_e32 v3, s8, v3
	s_cbranch_vccz .LBB32_10
; %bb.5:                                ;   in Loop: Header=BB32_4 Depth=1
	s_and_b32 vcc_lo, exec_lo, s1
                                        ; implicit-def: $sgpr3
	s_cbranch_vccz .LBB32_7
; %bb.6:                                ;   in Loop: Header=BB32_4 Depth=1
	s_delay_alu instid0(VALU_DEP_1)
	v_cmp_le_i32_e64 s3, v0, v3
	s_mov_b32 s4, 0
.LBB32_7:                               ;   in Loop: Header=BB32_4 Depth=1
	s_delay_alu instid0(SALU_CYCLE_1)
	s_and_not1_b32 vcc_lo, exec_lo, s4
	s_cbranch_vccnz .LBB32_9
; %bb.8:                                ;   in Loop: Header=BB32_4 Depth=1
	v_cmp_lt_i32_e32 vcc_lo, v0, v3
	s_and_not1_b32 s3, s3, exec_lo
	s_and_b32 s4, vcc_lo, exec_lo
	s_delay_alu instid0(SALU_CYCLE_1)
	s_or_b32 s3, s3, s4
.LBB32_9:                               ;   in Loop: Header=BB32_4 Depth=1
	s_mov_b32 s4, 0
.LBB32_10:                              ;   in Loop: Header=BB32_4 Depth=1
	s_delay_alu instid0(SALU_CYCLE_1)
	s_and_not1_b32 vcc_lo, exec_lo, s4
	s_cbranch_vccnz .LBB32_15
; %bb.11:                               ;   in Loop: Header=BB32_4 Depth=1
	s_and_b32 vcc_lo, exec_lo, s1
	s_mov_b32 s4, -1
                                        ; implicit-def: $sgpr3
	s_cbranch_vccz .LBB32_13
; %bb.12:                               ;   in Loop: Header=BB32_4 Depth=1
	v_cmp_ge_i32_e64 s3, v0, v3
	s_mov_b32 s4, 0
.LBB32_13:                              ;   in Loop: Header=BB32_4 Depth=1
	s_delay_alu instid0(SALU_CYCLE_1)
	s_and_not1_b32 vcc_lo, exec_lo, s4
	s_cbranch_vccnz .LBB32_15
; %bb.14:                               ;   in Loop: Header=BB32_4 Depth=1
	v_cmp_gt_i32_e32 vcc_lo, v0, v3
	s_and_not1_b32 s3, s3, exec_lo
	s_and_b32 s4, vcc_lo, exec_lo
	s_delay_alu instid0(SALU_CYCLE_1)
	s_or_b32 s3, s3, s4
.LBB32_15:                              ;   in Loop: Header=BB32_4 Depth=1
	s_wait_xcnt 0x0
	s_and_saveexec_b32 s4, s3
	s_cbranch_execz .LBB32_3
; %bb.16:                               ;   in Loop: Header=BB32_4 Depth=1
	global_load_u8 v9, v[4:5], off
	v_dual_add_nc_u32 v3, s14, v3 :: v_dual_add_nc_u32 v10, 1, v8
	global_store_b32 v8, v3, s[6:7] scale_offset
	s_wait_loadcnt 0x0
	global_store_b8 v8, v9, s[12:13]
	s_wait_xcnt 0x0
	v_mov_b32_e32 v8, v10
	s_branch .LBB32_3
.LBB32_17:
	s_endpgm
	.section	.rodata,"a",@progbits
	.p2align	6, 0x0
	.amdhsa_kernel _ZN9rocsparseL28internal_extract_fill_kernelILj1024EaiiEEvT2_PKT1_PKS1_PKT0_21rocsparse_index_base_b20rocsparse_diag_type_S4_PS1_PS7_SA_
		.amdhsa_group_segment_fixed_size 0
		.amdhsa_private_segment_fixed_size 0
		.amdhsa_kernarg_size 336
		.amdhsa_user_sgpr_count 2
		.amdhsa_user_sgpr_dispatch_ptr 0
		.amdhsa_user_sgpr_queue_ptr 0
		.amdhsa_user_sgpr_kernarg_segment_ptr 1
		.amdhsa_user_sgpr_dispatch_id 0
		.amdhsa_user_sgpr_kernarg_preload_length 0
		.amdhsa_user_sgpr_kernarg_preload_offset 0
		.amdhsa_user_sgpr_private_segment_size 0
		.amdhsa_wavefront_size32 1
		.amdhsa_uses_dynamic_stack 0
		.amdhsa_enable_private_segment 0
		.amdhsa_system_sgpr_workgroup_id_x 1
		.amdhsa_system_sgpr_workgroup_id_y 0
		.amdhsa_system_sgpr_workgroup_id_z 0
		.amdhsa_system_sgpr_workgroup_info 0
		.amdhsa_system_vgpr_workitem_id 0
		.amdhsa_next_free_vgpr 11
		.amdhsa_next_free_sgpr 20
		.amdhsa_named_barrier_count 0
		.amdhsa_reserve_vcc 1
		.amdhsa_float_round_mode_32 0
		.amdhsa_float_round_mode_16_64 0
		.amdhsa_float_denorm_mode_32 3
		.amdhsa_float_denorm_mode_16_64 3
		.amdhsa_fp16_overflow 0
		.amdhsa_memory_ordered 1
		.amdhsa_forward_progress 1
		.amdhsa_inst_pref_size 5
		.amdhsa_round_robin_scheduling 0
		.amdhsa_exception_fp_ieee_invalid_op 0
		.amdhsa_exception_fp_denorm_src 0
		.amdhsa_exception_fp_ieee_div_zero 0
		.amdhsa_exception_fp_ieee_overflow 0
		.amdhsa_exception_fp_ieee_underflow 0
		.amdhsa_exception_fp_ieee_inexact 0
		.amdhsa_exception_int_div_zero 0
	.end_amdhsa_kernel
	.section	.text._ZN9rocsparseL28internal_extract_fill_kernelILj1024EaiiEEvT2_PKT1_PKS1_PKT0_21rocsparse_index_base_b20rocsparse_diag_type_S4_PS1_PS7_SA_,"axG",@progbits,_ZN9rocsparseL28internal_extract_fill_kernelILj1024EaiiEEvT2_PKT1_PKS1_PKT0_21rocsparse_index_base_b20rocsparse_diag_type_S4_PS1_PS7_SA_,comdat
.Lfunc_end32:
	.size	_ZN9rocsparseL28internal_extract_fill_kernelILj1024EaiiEEvT2_PKT1_PKS1_PKT0_21rocsparse_index_base_b20rocsparse_diag_type_S4_PS1_PS7_SA_, .Lfunc_end32-_ZN9rocsparseL28internal_extract_fill_kernelILj1024EaiiEEvT2_PKT1_PKS1_PKT0_21rocsparse_index_base_b20rocsparse_diag_type_S4_PS1_PS7_SA_
                                        ; -- End function
	.set _ZN9rocsparseL28internal_extract_fill_kernelILj1024EaiiEEvT2_PKT1_PKS1_PKT0_21rocsparse_index_base_b20rocsparse_diag_type_S4_PS1_PS7_SA_.num_vgpr, 11
	.set _ZN9rocsparseL28internal_extract_fill_kernelILj1024EaiiEEvT2_PKT1_PKS1_PKT0_21rocsparse_index_base_b20rocsparse_diag_type_S4_PS1_PS7_SA_.num_agpr, 0
	.set _ZN9rocsparseL28internal_extract_fill_kernelILj1024EaiiEEvT2_PKT1_PKS1_PKT0_21rocsparse_index_base_b20rocsparse_diag_type_S4_PS1_PS7_SA_.numbered_sgpr, 20
	.set _ZN9rocsparseL28internal_extract_fill_kernelILj1024EaiiEEvT2_PKT1_PKS1_PKT0_21rocsparse_index_base_b20rocsparse_diag_type_S4_PS1_PS7_SA_.num_named_barrier, 0
	.set _ZN9rocsparseL28internal_extract_fill_kernelILj1024EaiiEEvT2_PKT1_PKS1_PKT0_21rocsparse_index_base_b20rocsparse_diag_type_S4_PS1_PS7_SA_.private_seg_size, 0
	.set _ZN9rocsparseL28internal_extract_fill_kernelILj1024EaiiEEvT2_PKT1_PKS1_PKT0_21rocsparse_index_base_b20rocsparse_diag_type_S4_PS1_PS7_SA_.uses_vcc, 1
	.set _ZN9rocsparseL28internal_extract_fill_kernelILj1024EaiiEEvT2_PKT1_PKS1_PKT0_21rocsparse_index_base_b20rocsparse_diag_type_S4_PS1_PS7_SA_.uses_flat_scratch, 0
	.set _ZN9rocsparseL28internal_extract_fill_kernelILj1024EaiiEEvT2_PKT1_PKS1_PKT0_21rocsparse_index_base_b20rocsparse_diag_type_S4_PS1_PS7_SA_.has_dyn_sized_stack, 0
	.set _ZN9rocsparseL28internal_extract_fill_kernelILj1024EaiiEEvT2_PKT1_PKS1_PKT0_21rocsparse_index_base_b20rocsparse_diag_type_S4_PS1_PS7_SA_.has_recursion, 0
	.set _ZN9rocsparseL28internal_extract_fill_kernelILj1024EaiiEEvT2_PKT1_PKS1_PKT0_21rocsparse_index_base_b20rocsparse_diag_type_S4_PS1_PS7_SA_.has_indirect_call, 0
	.section	.AMDGPU.csdata,"",@progbits
; Kernel info:
; codeLenInByte = 560
; TotalNumSgprs: 22
; NumVgprs: 11
; ScratchSize: 0
; MemoryBound: 0
; FloatMode: 240
; IeeeMode: 1
; LDSByteSize: 0 bytes/workgroup (compile time only)
; SGPRBlocks: 0
; VGPRBlocks: 0
; NumSGPRsForWavesPerEU: 22
; NumVGPRsForWavesPerEU: 11
; NamedBarCnt: 0
; Occupancy: 16
; WaveLimiterHint : 0
; COMPUTE_PGM_RSRC2:SCRATCH_EN: 0
; COMPUTE_PGM_RSRC2:USER_SGPR: 2
; COMPUTE_PGM_RSRC2:TRAP_HANDLER: 0
; COMPUTE_PGM_RSRC2:TGID_X_EN: 1
; COMPUTE_PGM_RSRC2:TGID_Y_EN: 0
; COMPUTE_PGM_RSRC2:TGID_Z_EN: 0
; COMPUTE_PGM_RSRC2:TIDIG_COMP_CNT: 0
	.section	.text._ZN9rocsparseL28internal_extract_fill_kernelILj1024EailEEvT2_PKT1_PKS1_PKT0_21rocsparse_index_base_b20rocsparse_diag_type_S4_PS1_PS7_SA_,"axG",@progbits,_ZN9rocsparseL28internal_extract_fill_kernelILj1024EailEEvT2_PKT1_PKS1_PKT0_21rocsparse_index_base_b20rocsparse_diag_type_S4_PS1_PS7_SA_,comdat
	.globl	_ZN9rocsparseL28internal_extract_fill_kernelILj1024EailEEvT2_PKT1_PKS1_PKT0_21rocsparse_index_base_b20rocsparse_diag_type_S4_PS1_PS7_SA_ ; -- Begin function _ZN9rocsparseL28internal_extract_fill_kernelILj1024EailEEvT2_PKT1_PKS1_PKT0_21rocsparse_index_base_b20rocsparse_diag_type_S4_PS1_PS7_SA_
	.p2align	8
	.type	_ZN9rocsparseL28internal_extract_fill_kernelILj1024EailEEvT2_PKT1_PKS1_PKT0_21rocsparse_index_base_b20rocsparse_diag_type_S4_PS1_PS7_SA_,@function
_ZN9rocsparseL28internal_extract_fill_kernelILj1024EailEEvT2_PKT1_PKS1_PKT0_21rocsparse_index_base_b20rocsparse_diag_type_S4_PS1_PS7_SA_: ; @_ZN9rocsparseL28internal_extract_fill_kernelILj1024EailEEvT2_PKT1_PKS1_PKT0_21rocsparse_index_base_b20rocsparse_diag_type_S4_PS1_PS7_SA_
; %bb.0:
	s_clause 0x1
	s_load_b32 s4, s[0:1], 0x5c
	s_load_b64 s[2:3], s[0:1], 0x0
	s_bfe_u32 s5, ttmp6, 0x4000c
	s_and_b32 s6, ttmp6, 15
	s_add_co_i32 s5, s5, 1
	s_getreg_b32 s7, hwreg(HW_REG_IB_STS2, 6, 4)
	s_mul_i32 s5, ttmp9, s5
	s_delay_alu instid0(SALU_CYCLE_1) | instskip(SKIP_4) | instid1(SALU_CYCLE_1)
	s_add_co_i32 s6, s6, s5
	s_wait_kmcnt 0x0
	s_and_b32 s4, s4, 0xffff
	s_cmp_eq_u32 s7, 0
	s_cselect_b32 s5, ttmp9, s6
	v_mad_u32 v0, s5, s4, v0
	s_delay_alu instid0(VALU_DEP_1) | instskip(NEXT) | instid1(VALU_DEP_1)
	v_ashrrev_i32_e32 v1, 31, v0
	v_cmp_gt_i64_e32 vcc_lo, s[2:3], v[0:1]
	s_and_saveexec_b32 s2, vcc_lo
	s_cbranch_execz .LBB33_17
; %bb.1:
	s_load_b64 s[2:3], s[0:1], 0x8
	s_wait_kmcnt 0x0
	v_lshl_add_u64 v[2:3], v[0:1], 2, s[2:3]
	global_load_b64 v[2:3], v[2:3], off
	s_wait_loadcnt 0x0
	v_cmp_lt_i32_e32 vcc_lo, v2, v3
	s_and_b32 exec_lo, exec_lo, vcc_lo
	s_cbranch_execz .LBB33_17
; %bb.2:
	s_load_b128 s[4:7], s[0:1], 0x30
	s_wait_kmcnt 0x0
	v_lshl_add_u64 v[4:5], v[0:1], 2, s[4:5]
	global_load_b32 v6, v[4:5], off
	s_clause 0x2
	s_load_b96 s[8:10], s[0:1], 0x20
	s_load_b96 s[12:14], s[0:1], 0x40
	s_load_b128 s[16:19], s[0:1], 0x10
	s_wait_xcnt 0x0
	s_mov_b32 s1, 0
	s_delay_alu instid0(SALU_CYCLE_1)
	s_mov_b32 s4, s1
	s_wait_kmcnt 0x0
	v_subrev_nc_u32_e32 v2, s8, v2
	v_subrev_nc_u32_e32 v10, s8, v3
	s_bitcmp1_b32 s9, 0
	s_mov_b32 s0, s14
	s_cselect_b32 s2, -1, 0
	v_ashrrev_i32_e32 v3, 31, v2
	s_xor_b32 s2, s2, -1
	s_cmp_lg_u32 s10, 1
	s_mov_b32 s9, s1
	s_cselect_b32 s3, -1, 0
	v_add_nc_u64_e32 v[4:5], s[18:19], v[2:3]
	s_wait_loadcnt 0x0
	v_subrev_nc_u32_e32 v11, s14, v6
	v_lshl_add_u64 v[6:7], v[2:3], 3, s[16:17]
	s_branch .LBB33_4
.LBB33_3:                               ;   in Loop: Header=BB33_4 Depth=1
	s_or_b32 exec_lo, exec_lo, s10
	v_add_nc_u32_e32 v2, 1, v2
	v_add_nc_u64_e32 v[6:7], 8, v[6:7]
	v_add_nc_u64_e32 v[4:5], 1, v[4:5]
	s_delay_alu instid0(VALU_DEP_3) | instskip(SKIP_1) | instid1(SALU_CYCLE_1)
	v_cmp_ge_i32_e32 vcc_lo, v2, v10
	s_or_b32 s4, vcc_lo, s4
	s_and_not1_b32 exec_lo, exec_lo, s4
	s_cbranch_execz .LBB33_17
.LBB33_4:                               ; =>This Inner Loop Header: Depth=1
	global_load_b64 v[8:9], v[6:7], off
	s_and_b32 vcc_lo, exec_lo, s2
	s_mov_b32 s10, -1
                                        ; implicit-def: $sgpr5
	s_wait_loadcnt 0x0
	v_sub_nc_u64_e64 v[8:9], v[8:9], s[8:9]
	s_cbranch_vccz .LBB33_10
; %bb.5:                                ;   in Loop: Header=BB33_4 Depth=1
	s_and_b32 vcc_lo, exec_lo, s3
                                        ; implicit-def: $sgpr5
	s_cbranch_vccz .LBB33_7
; %bb.6:                                ;   in Loop: Header=BB33_4 Depth=1
	s_delay_alu instid0(VALU_DEP_1)
	v_cmp_ge_i64_e64 s5, v[8:9], v[0:1]
	s_mov_b32 s10, 0
.LBB33_7:                               ;   in Loop: Header=BB33_4 Depth=1
	s_delay_alu instid0(SALU_CYCLE_1)
	s_and_not1_b32 vcc_lo, exec_lo, s10
	s_cbranch_vccnz .LBB33_9
; %bb.8:                                ;   in Loop: Header=BB33_4 Depth=1
	s_delay_alu instid0(VALU_DEP_1) | instskip(SKIP_2) | instid1(SALU_CYCLE_1)
	v_cmp_gt_i64_e32 vcc_lo, v[8:9], v[0:1]
	s_and_not1_b32 s5, s5, exec_lo
	s_and_b32 s10, vcc_lo, exec_lo
	s_or_b32 s5, s5, s10
.LBB33_9:                               ;   in Loop: Header=BB33_4 Depth=1
	s_mov_b32 s10, 0
.LBB33_10:                              ;   in Loop: Header=BB33_4 Depth=1
	s_delay_alu instid0(SALU_CYCLE_1)
	s_and_not1_b32 vcc_lo, exec_lo, s10
	s_cbranch_vccnz .LBB33_15
; %bb.11:                               ;   in Loop: Header=BB33_4 Depth=1
	s_and_b32 vcc_lo, exec_lo, s3
	s_mov_b32 s10, -1
                                        ; implicit-def: $sgpr5
	s_cbranch_vccz .LBB33_13
; %bb.12:                               ;   in Loop: Header=BB33_4 Depth=1
	v_cmp_le_i64_e64 s5, v[8:9], v[0:1]
	s_mov_b32 s10, 0
.LBB33_13:                              ;   in Loop: Header=BB33_4 Depth=1
	s_delay_alu instid0(SALU_CYCLE_1)
	s_and_not1_b32 vcc_lo, exec_lo, s10
	s_cbranch_vccnz .LBB33_15
; %bb.14:                               ;   in Loop: Header=BB33_4 Depth=1
	v_cmp_lt_i64_e32 vcc_lo, v[8:9], v[0:1]
	s_and_not1_b32 s5, s5, exec_lo
	s_and_b32 s10, vcc_lo, exec_lo
	s_delay_alu instid0(SALU_CYCLE_1)
	s_or_b32 s5, s5, s10
.LBB33_15:                              ;   in Loop: Header=BB33_4 Depth=1
	s_wait_xcnt 0x0
	s_and_saveexec_b32 s10, s5
	s_cbranch_execz .LBB33_3
; %bb.16:                               ;   in Loop: Header=BB33_4 Depth=1
	global_load_u8 v3, v[4:5], off
	v_add_nc_u64_e32 v[8:9], s[0:1], v[8:9]
	v_add_nc_u32_e32 v12, 1, v11
	global_store_b64 v11, v[8:9], s[6:7] scale_offset
	s_wait_loadcnt 0x0
	global_store_b8 v11, v3, s[12:13]
	s_wait_xcnt 0x0
	v_mov_b32_e32 v11, v12
	s_branch .LBB33_3
.LBB33_17:
	s_endpgm
	.section	.rodata,"a",@progbits
	.p2align	6, 0x0
	.amdhsa_kernel _ZN9rocsparseL28internal_extract_fill_kernelILj1024EailEEvT2_PKT1_PKS1_PKT0_21rocsparse_index_base_b20rocsparse_diag_type_S4_PS1_PS7_SA_
		.amdhsa_group_segment_fixed_size 0
		.amdhsa_private_segment_fixed_size 0
		.amdhsa_kernarg_size 336
		.amdhsa_user_sgpr_count 2
		.amdhsa_user_sgpr_dispatch_ptr 0
		.amdhsa_user_sgpr_queue_ptr 0
		.amdhsa_user_sgpr_kernarg_segment_ptr 1
		.amdhsa_user_sgpr_dispatch_id 0
		.amdhsa_user_sgpr_kernarg_preload_length 0
		.amdhsa_user_sgpr_kernarg_preload_offset 0
		.amdhsa_user_sgpr_private_segment_size 0
		.amdhsa_wavefront_size32 1
		.amdhsa_uses_dynamic_stack 0
		.amdhsa_enable_private_segment 0
		.amdhsa_system_sgpr_workgroup_id_x 1
		.amdhsa_system_sgpr_workgroup_id_y 0
		.amdhsa_system_sgpr_workgroup_id_z 0
		.amdhsa_system_sgpr_workgroup_info 0
		.amdhsa_system_vgpr_workitem_id 0
		.amdhsa_next_free_vgpr 13
		.amdhsa_next_free_sgpr 20
		.amdhsa_named_barrier_count 0
		.amdhsa_reserve_vcc 1
		.amdhsa_float_round_mode_32 0
		.amdhsa_float_round_mode_16_64 0
		.amdhsa_float_denorm_mode_32 3
		.amdhsa_float_denorm_mode_16_64 3
		.amdhsa_fp16_overflow 0
		.amdhsa_memory_ordered 1
		.amdhsa_forward_progress 1
		.amdhsa_inst_pref_size 5
		.amdhsa_round_robin_scheduling 0
		.amdhsa_exception_fp_ieee_invalid_op 0
		.amdhsa_exception_fp_denorm_src 0
		.amdhsa_exception_fp_ieee_div_zero 0
		.amdhsa_exception_fp_ieee_overflow 0
		.amdhsa_exception_fp_ieee_underflow 0
		.amdhsa_exception_fp_ieee_inexact 0
		.amdhsa_exception_int_div_zero 0
	.end_amdhsa_kernel
	.section	.text._ZN9rocsparseL28internal_extract_fill_kernelILj1024EailEEvT2_PKT1_PKS1_PKT0_21rocsparse_index_base_b20rocsparse_diag_type_S4_PS1_PS7_SA_,"axG",@progbits,_ZN9rocsparseL28internal_extract_fill_kernelILj1024EailEEvT2_PKT1_PKS1_PKT0_21rocsparse_index_base_b20rocsparse_diag_type_S4_PS1_PS7_SA_,comdat
.Lfunc_end33:
	.size	_ZN9rocsparseL28internal_extract_fill_kernelILj1024EailEEvT2_PKT1_PKS1_PKT0_21rocsparse_index_base_b20rocsparse_diag_type_S4_PS1_PS7_SA_, .Lfunc_end33-_ZN9rocsparseL28internal_extract_fill_kernelILj1024EailEEvT2_PKT1_PKS1_PKT0_21rocsparse_index_base_b20rocsparse_diag_type_S4_PS1_PS7_SA_
                                        ; -- End function
	.set _ZN9rocsparseL28internal_extract_fill_kernelILj1024EailEEvT2_PKT1_PKS1_PKT0_21rocsparse_index_base_b20rocsparse_diag_type_S4_PS1_PS7_SA_.num_vgpr, 13
	.set _ZN9rocsparseL28internal_extract_fill_kernelILj1024EailEEvT2_PKT1_PKS1_PKT0_21rocsparse_index_base_b20rocsparse_diag_type_S4_PS1_PS7_SA_.num_agpr, 0
	.set _ZN9rocsparseL28internal_extract_fill_kernelILj1024EailEEvT2_PKT1_PKS1_PKT0_21rocsparse_index_base_b20rocsparse_diag_type_S4_PS1_PS7_SA_.numbered_sgpr, 20
	.set _ZN9rocsparseL28internal_extract_fill_kernelILj1024EailEEvT2_PKT1_PKS1_PKT0_21rocsparse_index_base_b20rocsparse_diag_type_S4_PS1_PS7_SA_.num_named_barrier, 0
	.set _ZN9rocsparseL28internal_extract_fill_kernelILj1024EailEEvT2_PKT1_PKS1_PKT0_21rocsparse_index_base_b20rocsparse_diag_type_S4_PS1_PS7_SA_.private_seg_size, 0
	.set _ZN9rocsparseL28internal_extract_fill_kernelILj1024EailEEvT2_PKT1_PKS1_PKT0_21rocsparse_index_base_b20rocsparse_diag_type_S4_PS1_PS7_SA_.uses_vcc, 1
	.set _ZN9rocsparseL28internal_extract_fill_kernelILj1024EailEEvT2_PKT1_PKS1_PKT0_21rocsparse_index_base_b20rocsparse_diag_type_S4_PS1_PS7_SA_.uses_flat_scratch, 0
	.set _ZN9rocsparseL28internal_extract_fill_kernelILj1024EailEEvT2_PKT1_PKS1_PKT0_21rocsparse_index_base_b20rocsparse_diag_type_S4_PS1_PS7_SA_.has_dyn_sized_stack, 0
	.set _ZN9rocsparseL28internal_extract_fill_kernelILj1024EailEEvT2_PKT1_PKS1_PKT0_21rocsparse_index_base_b20rocsparse_diag_type_S4_PS1_PS7_SA_.has_recursion, 0
	.set _ZN9rocsparseL28internal_extract_fill_kernelILj1024EailEEvT2_PKT1_PKS1_PKT0_21rocsparse_index_base_b20rocsparse_diag_type_S4_PS1_PS7_SA_.has_indirect_call, 0
	.section	.AMDGPU.csdata,"",@progbits
; Kernel info:
; codeLenInByte = 568
; TotalNumSgprs: 22
; NumVgprs: 13
; ScratchSize: 0
; MemoryBound: 0
; FloatMode: 240
; IeeeMode: 1
; LDSByteSize: 0 bytes/workgroup (compile time only)
; SGPRBlocks: 0
; VGPRBlocks: 0
; NumSGPRsForWavesPerEU: 22
; NumVGPRsForWavesPerEU: 13
; NamedBarCnt: 0
; Occupancy: 16
; WaveLimiterHint : 0
; COMPUTE_PGM_RSRC2:SCRATCH_EN: 0
; COMPUTE_PGM_RSRC2:USER_SGPR: 2
; COMPUTE_PGM_RSRC2:TRAP_HANDLER: 0
; COMPUTE_PGM_RSRC2:TGID_X_EN: 1
; COMPUTE_PGM_RSRC2:TGID_Y_EN: 0
; COMPUTE_PGM_RSRC2:TGID_Z_EN: 0
; COMPUTE_PGM_RSRC2:TIDIG_COMP_CNT: 0
	.section	.text._ZN9rocsparseL28internal_extract_fill_kernelILj1024EaliEEvT2_PKT1_PKS1_PKT0_21rocsparse_index_base_b20rocsparse_diag_type_S4_PS1_PS7_SA_,"axG",@progbits,_ZN9rocsparseL28internal_extract_fill_kernelILj1024EaliEEvT2_PKT1_PKS1_PKT0_21rocsparse_index_base_b20rocsparse_diag_type_S4_PS1_PS7_SA_,comdat
	.globl	_ZN9rocsparseL28internal_extract_fill_kernelILj1024EaliEEvT2_PKT1_PKS1_PKT0_21rocsparse_index_base_b20rocsparse_diag_type_S4_PS1_PS7_SA_ ; -- Begin function _ZN9rocsparseL28internal_extract_fill_kernelILj1024EaliEEvT2_PKT1_PKS1_PKT0_21rocsparse_index_base_b20rocsparse_diag_type_S4_PS1_PS7_SA_
	.p2align	8
	.type	_ZN9rocsparseL28internal_extract_fill_kernelILj1024EaliEEvT2_PKT1_PKS1_PKT0_21rocsparse_index_base_b20rocsparse_diag_type_S4_PS1_PS7_SA_,@function
_ZN9rocsparseL28internal_extract_fill_kernelILj1024EaliEEvT2_PKT1_PKS1_PKT0_21rocsparse_index_base_b20rocsparse_diag_type_S4_PS1_PS7_SA_: ; @_ZN9rocsparseL28internal_extract_fill_kernelILj1024EaliEEvT2_PKT1_PKS1_PKT0_21rocsparse_index_base_b20rocsparse_diag_type_S4_PS1_PS7_SA_
; %bb.0:
	s_clause 0x1
	s_load_b32 s2, s[0:1], 0x0
	s_load_b32 s4, s[0:1], 0x5c
	s_bfe_u32 s3, ttmp6, 0x4000c
	s_and_b32 s5, ttmp6, 15
	s_add_co_i32 s3, s3, 1
	s_getreg_b32 s6, hwreg(HW_REG_IB_STS2, 6, 4)
	s_mul_i32 s7, ttmp9, s3
	v_mov_b32_e32 v5, 0
	s_add_co_i32 s5, s5, s7
	s_wait_kmcnt 0x0
	s_ashr_i32 s3, s2, 31
	s_and_b32 s4, s4, 0xffff
	s_cmp_eq_u32 s6, 0
	s_cselect_b32 s5, ttmp9, s5
	s_delay_alu instid0(SALU_CYCLE_1) | instskip(NEXT) | instid1(VALU_DEP_1)
	v_mad_u32 v4, s5, s4, v0
	v_cmp_gt_i64_e32 vcc_lo, s[2:3], v[4:5]
	s_and_saveexec_b32 s2, vcc_lo
	s_cbranch_execz .LBB34_17
; %bb.1:
	s_load_b64 s[2:3], s[0:1], 0x8
	s_wait_kmcnt 0x0
	v_lshl_add_u64 v[0:1], v[4:5], 3, s[2:3]
	global_load_b128 v[0:3], v[0:1], off
	s_wait_loadcnt 0x0
	v_cmp_lt_i64_e32 vcc_lo, v[0:1], v[2:3]
	s_and_b32 exec_lo, exec_lo, vcc_lo
	s_cbranch_execz .LBB34_17
; %bb.2:
	s_load_b128 s[4:7], s[0:1], 0x30
	v_lshlrev_b64_e32 v[8:9], 2, v[0:1]
	s_wait_kmcnt 0x0
	v_lshl_add_u64 v[6:7], v[4:5], 3, s[4:5]
	global_load_b64 v[6:7], v[6:7], off
	s_clause 0x2
	s_load_b96 s[12:14], s[0:1], 0x20
	s_load_b96 s[16:18], s[0:1], 0x40
	s_load_b128 s[8:11], s[0:1], 0x10
	s_wait_xcnt 0x0
	s_mov_b32 s1, 0
	s_wait_kmcnt 0x0
	s_bitcmp1_b32 s13, 0
	s_cselect_b32 s0, -1, 0
	s_delay_alu instid0(SALU_CYCLE_1)
	s_xor_b32 s2, s0, -1
	s_cmp_lg_u32 s14, 1
	s_mov_b32 s0, s12
	s_cselect_b32 s3, -1, 0
	s_lshl_b64 s[4:5], s[0:1], 2
	v_sub_nc_u64_e64 v[2:3], v[2:3], s[0:1]
	v_sub_nc_u64_e64 v[10:11], v[8:9], s[4:5]
	s_mov_b32 s5, s1
	s_mov_b32 s4, s18
	v_sub_nc_u64_e64 v[0:1], v[0:1], s[0:1]
	s_wait_loadcnt 0x0
	v_sub_nc_u64_e64 v[8:9], v[6:7], s[4:5]
	s_delay_alu instid0(VALU_DEP_3)
	v_add_nc_u64_e32 v[6:7], s[8:9], v[10:11]
	s_branch .LBB34_4
.LBB34_3:                               ;   in Loop: Header=BB34_4 Depth=1
	s_wait_xcnt 0x0
	s_or_b32 exec_lo, exec_lo, s4
	v_add_nc_u64_e32 v[0:1], 1, v[0:1]
	v_add_nc_u64_e32 v[6:7], 4, v[6:7]
	s_delay_alu instid0(VALU_DEP_2) | instskip(SKIP_1) | instid1(SALU_CYCLE_1)
	v_cmp_ge_i64_e32 vcc_lo, v[0:1], v[2:3]
	s_or_b32 s1, vcc_lo, s1
	s_and_not1_b32 exec_lo, exec_lo, s1
	s_cbranch_execz .LBB34_17
.LBB34_4:                               ; =>This Inner Loop Header: Depth=1
	global_load_b32 v5, v[6:7], off
	s_and_b32 vcc_lo, exec_lo, s2
	s_mov_b32 s4, -1
                                        ; implicit-def: $sgpr0
	s_wait_loadcnt 0x0
	v_subrev_nc_u32_e32 v5, s12, v5
	s_cbranch_vccz .LBB34_10
; %bb.5:                                ;   in Loop: Header=BB34_4 Depth=1
	s_and_b32 vcc_lo, exec_lo, s3
                                        ; implicit-def: $sgpr0
	s_cbranch_vccz .LBB34_7
; %bb.6:                                ;   in Loop: Header=BB34_4 Depth=1
	s_delay_alu instid0(VALU_DEP_1)
	v_cmp_le_i32_e64 s0, v4, v5
	s_mov_b32 s4, 0
.LBB34_7:                               ;   in Loop: Header=BB34_4 Depth=1
	s_delay_alu instid0(SALU_CYCLE_1)
	s_and_not1_b32 vcc_lo, exec_lo, s4
	s_cbranch_vccnz .LBB34_9
; %bb.8:                                ;   in Loop: Header=BB34_4 Depth=1
	v_cmp_lt_i32_e32 vcc_lo, v4, v5
	s_and_not1_b32 s0, s0, exec_lo
	s_and_b32 s4, vcc_lo, exec_lo
	s_delay_alu instid0(SALU_CYCLE_1)
	s_or_b32 s0, s0, s4
.LBB34_9:                               ;   in Loop: Header=BB34_4 Depth=1
	s_mov_b32 s4, 0
.LBB34_10:                              ;   in Loop: Header=BB34_4 Depth=1
	s_delay_alu instid0(SALU_CYCLE_1)
	s_and_not1_b32 vcc_lo, exec_lo, s4
	s_cbranch_vccnz .LBB34_15
; %bb.11:                               ;   in Loop: Header=BB34_4 Depth=1
	s_and_b32 vcc_lo, exec_lo, s3
	s_mov_b32 s4, -1
                                        ; implicit-def: $sgpr0
	s_cbranch_vccz .LBB34_13
; %bb.12:                               ;   in Loop: Header=BB34_4 Depth=1
	v_cmp_ge_i32_e64 s0, v4, v5
	s_mov_b32 s4, 0
.LBB34_13:                              ;   in Loop: Header=BB34_4 Depth=1
	s_delay_alu instid0(SALU_CYCLE_1)
	s_and_not1_b32 vcc_lo, exec_lo, s4
	s_cbranch_vccnz .LBB34_15
; %bb.14:                               ;   in Loop: Header=BB34_4 Depth=1
	v_cmp_gt_i32_e32 vcc_lo, v4, v5
	s_and_not1_b32 s0, s0, exec_lo
	s_and_b32 s4, vcc_lo, exec_lo
	s_delay_alu instid0(SALU_CYCLE_1)
	s_or_b32 s0, s0, s4
.LBB34_15:                              ;   in Loop: Header=BB34_4 Depth=1
	s_wait_xcnt 0x0
	s_and_saveexec_b32 s4, s0
	s_cbranch_execz .LBB34_3
; %bb.16:                               ;   in Loop: Header=BB34_4 Depth=1
	v_add_nc_u64_e32 v[10:11], s[10:11], v[0:1]
	v_add_nc_u64_e32 v[12:13], s[16:17], v[8:9]
	v_lshl_add_u64 v[14:15], v[8:9], 2, s[6:7]
	v_add_nc_u32_e32 v5, s18, v5
	global_load_u8 v16, v[10:11], off
	s_wait_xcnt 0x0
	v_add_nc_u64_e32 v[10:11], 1, v[8:9]
	global_store_b32 v[14:15], v5, off
	s_wait_loadcnt 0x0
	global_store_b8 v[12:13], v16, off
	v_mov_b64_e32 v[8:9], v[10:11]
	s_branch .LBB34_3
.LBB34_17:
	s_endpgm
	.section	.rodata,"a",@progbits
	.p2align	6, 0x0
	.amdhsa_kernel _ZN9rocsparseL28internal_extract_fill_kernelILj1024EaliEEvT2_PKT1_PKS1_PKT0_21rocsparse_index_base_b20rocsparse_diag_type_S4_PS1_PS7_SA_
		.amdhsa_group_segment_fixed_size 0
		.amdhsa_private_segment_fixed_size 0
		.amdhsa_kernarg_size 336
		.amdhsa_user_sgpr_count 2
		.amdhsa_user_sgpr_dispatch_ptr 0
		.amdhsa_user_sgpr_queue_ptr 0
		.amdhsa_user_sgpr_kernarg_segment_ptr 1
		.amdhsa_user_sgpr_dispatch_id 0
		.amdhsa_user_sgpr_kernarg_preload_length 0
		.amdhsa_user_sgpr_kernarg_preload_offset 0
		.amdhsa_user_sgpr_private_segment_size 0
		.amdhsa_wavefront_size32 1
		.amdhsa_uses_dynamic_stack 0
		.amdhsa_enable_private_segment 0
		.amdhsa_system_sgpr_workgroup_id_x 1
		.amdhsa_system_sgpr_workgroup_id_y 0
		.amdhsa_system_sgpr_workgroup_id_z 0
		.amdhsa_system_sgpr_workgroup_info 0
		.amdhsa_system_vgpr_workitem_id 0
		.amdhsa_next_free_vgpr 17
		.amdhsa_next_free_sgpr 19
		.amdhsa_named_barrier_count 0
		.amdhsa_reserve_vcc 1
		.amdhsa_float_round_mode_32 0
		.amdhsa_float_round_mode_16_64 0
		.amdhsa_float_denorm_mode_32 3
		.amdhsa_float_denorm_mode_16_64 3
		.amdhsa_fp16_overflow 0
		.amdhsa_memory_ordered 1
		.amdhsa_forward_progress 1
		.amdhsa_inst_pref_size 5
		.amdhsa_round_robin_scheduling 0
		.amdhsa_exception_fp_ieee_invalid_op 0
		.amdhsa_exception_fp_denorm_src 0
		.amdhsa_exception_fp_ieee_div_zero 0
		.amdhsa_exception_fp_ieee_overflow 0
		.amdhsa_exception_fp_ieee_underflow 0
		.amdhsa_exception_fp_ieee_inexact 0
		.amdhsa_exception_int_div_zero 0
	.end_amdhsa_kernel
	.section	.text._ZN9rocsparseL28internal_extract_fill_kernelILj1024EaliEEvT2_PKT1_PKS1_PKT0_21rocsparse_index_base_b20rocsparse_diag_type_S4_PS1_PS7_SA_,"axG",@progbits,_ZN9rocsparseL28internal_extract_fill_kernelILj1024EaliEEvT2_PKT1_PKS1_PKT0_21rocsparse_index_base_b20rocsparse_diag_type_S4_PS1_PS7_SA_,comdat
.Lfunc_end34:
	.size	_ZN9rocsparseL28internal_extract_fill_kernelILj1024EaliEEvT2_PKT1_PKS1_PKT0_21rocsparse_index_base_b20rocsparse_diag_type_S4_PS1_PS7_SA_, .Lfunc_end34-_ZN9rocsparseL28internal_extract_fill_kernelILj1024EaliEEvT2_PKT1_PKS1_PKT0_21rocsparse_index_base_b20rocsparse_diag_type_S4_PS1_PS7_SA_
                                        ; -- End function
	.set _ZN9rocsparseL28internal_extract_fill_kernelILj1024EaliEEvT2_PKT1_PKS1_PKT0_21rocsparse_index_base_b20rocsparse_diag_type_S4_PS1_PS7_SA_.num_vgpr, 17
	.set _ZN9rocsparseL28internal_extract_fill_kernelILj1024EaliEEvT2_PKT1_PKS1_PKT0_21rocsparse_index_base_b20rocsparse_diag_type_S4_PS1_PS7_SA_.num_agpr, 0
	.set _ZN9rocsparseL28internal_extract_fill_kernelILj1024EaliEEvT2_PKT1_PKS1_PKT0_21rocsparse_index_base_b20rocsparse_diag_type_S4_PS1_PS7_SA_.numbered_sgpr, 19
	.set _ZN9rocsparseL28internal_extract_fill_kernelILj1024EaliEEvT2_PKT1_PKS1_PKT0_21rocsparse_index_base_b20rocsparse_diag_type_S4_PS1_PS7_SA_.num_named_barrier, 0
	.set _ZN9rocsparseL28internal_extract_fill_kernelILj1024EaliEEvT2_PKT1_PKS1_PKT0_21rocsparse_index_base_b20rocsparse_diag_type_S4_PS1_PS7_SA_.private_seg_size, 0
	.set _ZN9rocsparseL28internal_extract_fill_kernelILj1024EaliEEvT2_PKT1_PKS1_PKT0_21rocsparse_index_base_b20rocsparse_diag_type_S4_PS1_PS7_SA_.uses_vcc, 1
	.set _ZN9rocsparseL28internal_extract_fill_kernelILj1024EaliEEvT2_PKT1_PKS1_PKT0_21rocsparse_index_base_b20rocsparse_diag_type_S4_PS1_PS7_SA_.uses_flat_scratch, 0
	.set _ZN9rocsparseL28internal_extract_fill_kernelILj1024EaliEEvT2_PKT1_PKS1_PKT0_21rocsparse_index_base_b20rocsparse_diag_type_S4_PS1_PS7_SA_.has_dyn_sized_stack, 0
	.set _ZN9rocsparseL28internal_extract_fill_kernelILj1024EaliEEvT2_PKT1_PKS1_PKT0_21rocsparse_index_base_b20rocsparse_diag_type_S4_PS1_PS7_SA_.has_recursion, 0
	.set _ZN9rocsparseL28internal_extract_fill_kernelILj1024EaliEEvT2_PKT1_PKS1_PKT0_21rocsparse_index_base_b20rocsparse_diag_type_S4_PS1_PS7_SA_.has_indirect_call, 0
	.section	.AMDGPU.csdata,"",@progbits
; Kernel info:
; codeLenInByte = 600
; TotalNumSgprs: 21
; NumVgprs: 17
; ScratchSize: 0
; MemoryBound: 0
; FloatMode: 240
; IeeeMode: 1
; LDSByteSize: 0 bytes/workgroup (compile time only)
; SGPRBlocks: 0
; VGPRBlocks: 1
; NumSGPRsForWavesPerEU: 21
; NumVGPRsForWavesPerEU: 17
; NamedBarCnt: 0
; Occupancy: 16
; WaveLimiterHint : 0
; COMPUTE_PGM_RSRC2:SCRATCH_EN: 0
; COMPUTE_PGM_RSRC2:USER_SGPR: 2
; COMPUTE_PGM_RSRC2:TRAP_HANDLER: 0
; COMPUTE_PGM_RSRC2:TGID_X_EN: 1
; COMPUTE_PGM_RSRC2:TGID_Y_EN: 0
; COMPUTE_PGM_RSRC2:TGID_Z_EN: 0
; COMPUTE_PGM_RSRC2:TIDIG_COMP_CNT: 0
	.section	.text._ZN9rocsparseL28internal_extract_fill_kernelILj1024EallEEvT2_PKT1_PKS1_PKT0_21rocsparse_index_base_b20rocsparse_diag_type_S4_PS1_PS7_SA_,"axG",@progbits,_ZN9rocsparseL28internal_extract_fill_kernelILj1024EallEEvT2_PKT1_PKS1_PKT0_21rocsparse_index_base_b20rocsparse_diag_type_S4_PS1_PS7_SA_,comdat
	.globl	_ZN9rocsparseL28internal_extract_fill_kernelILj1024EallEEvT2_PKT1_PKS1_PKT0_21rocsparse_index_base_b20rocsparse_diag_type_S4_PS1_PS7_SA_ ; -- Begin function _ZN9rocsparseL28internal_extract_fill_kernelILj1024EallEEvT2_PKT1_PKS1_PKT0_21rocsparse_index_base_b20rocsparse_diag_type_S4_PS1_PS7_SA_
	.p2align	8
	.type	_ZN9rocsparseL28internal_extract_fill_kernelILj1024EallEEvT2_PKT1_PKS1_PKT0_21rocsparse_index_base_b20rocsparse_diag_type_S4_PS1_PS7_SA_,@function
_ZN9rocsparseL28internal_extract_fill_kernelILj1024EallEEvT2_PKT1_PKS1_PKT0_21rocsparse_index_base_b20rocsparse_diag_type_S4_PS1_PS7_SA_: ; @_ZN9rocsparseL28internal_extract_fill_kernelILj1024EallEEvT2_PKT1_PKS1_PKT0_21rocsparse_index_base_b20rocsparse_diag_type_S4_PS1_PS7_SA_
; %bb.0:
	s_clause 0x1
	s_load_b32 s4, s[0:1], 0x5c
	s_load_b64 s[2:3], s[0:1], 0x0
	s_bfe_u32 s5, ttmp6, 0x4000c
	s_and_b32 s6, ttmp6, 15
	s_add_co_i32 s5, s5, 1
	s_getreg_b32 s7, hwreg(HW_REG_IB_STS2, 6, 4)
	s_mul_i32 s5, ttmp9, s5
	v_mov_b32_e32 v5, 0
	s_add_co_i32 s6, s6, s5
	s_wait_kmcnt 0x0
	s_and_b32 s4, s4, 0xffff
	s_cmp_eq_u32 s7, 0
	s_cselect_b32 s5, ttmp9, s6
	s_delay_alu instid0(SALU_CYCLE_1) | instskip(NEXT) | instid1(VALU_DEP_1)
	v_mad_u32 v4, s5, s4, v0
	v_cmp_gt_i64_e32 vcc_lo, s[2:3], v[4:5]
	s_and_saveexec_b32 s2, vcc_lo
	s_cbranch_execz .LBB35_17
; %bb.1:
	s_load_b64 s[2:3], s[0:1], 0x8
	s_wait_kmcnt 0x0
	v_lshl_add_u64 v[0:1], v[4:5], 3, s[2:3]
	global_load_b128 v[0:3], v[0:1], off
	s_wait_loadcnt 0x0
	v_cmp_lt_i64_e32 vcc_lo, v[0:1], v[2:3]
	s_and_b32 exec_lo, exec_lo, vcc_lo
	s_cbranch_execz .LBB35_17
; %bb.2:
	s_load_b128 s[4:7], s[0:1], 0x30
	v_lshlrev_b64_e32 v[8:9], 3, v[0:1]
	s_wait_kmcnt 0x0
	v_lshl_add_u64 v[6:7], v[4:5], 3, s[4:5]
	global_load_b64 v[6:7], v[6:7], off
	s_clause 0x2
	s_load_b96 s[16:18], s[0:1], 0x20
	s_load_b96 s[12:14], s[0:1], 0x40
	s_load_b128 s[8:11], s[0:1], 0x10
	s_wait_xcnt 0x0
	s_mov_b32 s1, 0
	s_delay_alu instid0(SALU_CYCLE_1)
	s_mov_b32 s3, s1
	s_wait_kmcnt 0x0
	s_bitcmp1_b32 s17, 0
	s_mov_b32 s2, s16
	s_cselect_b32 s0, -1, 0
	v_sub_nc_u64_e64 v[2:3], v[2:3], s[2:3]
	s_xor_b32 s4, s0, -1
	s_cmp_lg_u32 s18, 1
	s_mov_b32 s0, s14
	s_cselect_b32 s5, -1, 0
	s_lshl_b64 s[16:17], s[2:3], 3
	v_sub_nc_u64_e64 v[0:1], v[0:1], s[2:3]
	v_sub_nc_u64_e64 v[10:11], v[8:9], s[16:17]
	s_wait_loadcnt 0x0
	v_sub_nc_u64_e64 v[8:9], v[6:7], s[0:1]
	s_delay_alu instid0(VALU_DEP_2)
	v_add_nc_u64_e32 v[6:7], s[8:9], v[10:11]
	s_mov_b32 s8, s1
	s_branch .LBB35_4
.LBB35_3:                               ;   in Loop: Header=BB35_4 Depth=1
	s_wait_xcnt 0x0
	s_or_b32 exec_lo, exec_lo, s14
	v_add_nc_u64_e32 v[0:1], 1, v[0:1]
	v_add_nc_u64_e32 v[6:7], 8, v[6:7]
	s_delay_alu instid0(VALU_DEP_2) | instskip(SKIP_1) | instid1(SALU_CYCLE_1)
	v_cmp_ge_i64_e32 vcc_lo, v[0:1], v[2:3]
	s_or_b32 s8, vcc_lo, s8
	s_and_not1_b32 exec_lo, exec_lo, s8
	s_cbranch_execz .LBB35_17
.LBB35_4:                               ; =>This Inner Loop Header: Depth=1
	global_load_b64 v[10:11], v[6:7], off
	s_and_b32 vcc_lo, exec_lo, s4
	s_mov_b32 s14, -1
                                        ; implicit-def: $sgpr9
	s_wait_loadcnt 0x0
	v_sub_nc_u64_e64 v[10:11], v[10:11], s[2:3]
	s_cbranch_vccz .LBB35_10
; %bb.5:                                ;   in Loop: Header=BB35_4 Depth=1
	s_and_b32 vcc_lo, exec_lo, s5
                                        ; implicit-def: $sgpr9
	s_cbranch_vccz .LBB35_7
; %bb.6:                                ;   in Loop: Header=BB35_4 Depth=1
	s_delay_alu instid0(VALU_DEP_1)
	v_cmp_ge_i64_e64 s9, v[10:11], v[4:5]
	s_mov_b32 s14, 0
.LBB35_7:                               ;   in Loop: Header=BB35_4 Depth=1
	s_delay_alu instid0(SALU_CYCLE_1)
	s_and_not1_b32 vcc_lo, exec_lo, s14
	s_cbranch_vccnz .LBB35_9
; %bb.8:                                ;   in Loop: Header=BB35_4 Depth=1
	s_delay_alu instid0(VALU_DEP_1) | instskip(SKIP_2) | instid1(SALU_CYCLE_1)
	v_cmp_gt_i64_e32 vcc_lo, v[10:11], v[4:5]
	s_and_not1_b32 s9, s9, exec_lo
	s_and_b32 s14, vcc_lo, exec_lo
	s_or_b32 s9, s9, s14
.LBB35_9:                               ;   in Loop: Header=BB35_4 Depth=1
	s_mov_b32 s14, 0
.LBB35_10:                              ;   in Loop: Header=BB35_4 Depth=1
	s_delay_alu instid0(SALU_CYCLE_1)
	s_and_not1_b32 vcc_lo, exec_lo, s14
	s_cbranch_vccnz .LBB35_15
; %bb.11:                               ;   in Loop: Header=BB35_4 Depth=1
	s_and_b32 vcc_lo, exec_lo, s5
	s_mov_b32 s14, -1
                                        ; implicit-def: $sgpr9
	s_cbranch_vccz .LBB35_13
; %bb.12:                               ;   in Loop: Header=BB35_4 Depth=1
	v_cmp_le_i64_e64 s9, v[10:11], v[4:5]
	s_mov_b32 s14, 0
.LBB35_13:                              ;   in Loop: Header=BB35_4 Depth=1
	s_delay_alu instid0(SALU_CYCLE_1)
	s_and_not1_b32 vcc_lo, exec_lo, s14
	s_cbranch_vccnz .LBB35_15
; %bb.14:                               ;   in Loop: Header=BB35_4 Depth=1
	v_cmp_lt_i64_e32 vcc_lo, v[10:11], v[4:5]
	s_and_not1_b32 s9, s9, exec_lo
	s_and_b32 s14, vcc_lo, exec_lo
	s_delay_alu instid0(SALU_CYCLE_1)
	s_or_b32 s9, s9, s14
.LBB35_15:                              ;   in Loop: Header=BB35_4 Depth=1
	s_wait_xcnt 0x0
	s_and_saveexec_b32 s14, s9
	s_cbranch_execz .LBB35_3
; %bb.16:                               ;   in Loop: Header=BB35_4 Depth=1
	v_add_nc_u64_e32 v[12:13], s[10:11], v[0:1]
	v_add_nc_u64_e32 v[10:11], s[0:1], v[10:11]
	;; [unrolled: 1-line block ×3, first 2 shown]
	v_lshl_add_u64 v[16:17], v[8:9], 3, s[6:7]
	global_load_u8 v18, v[12:13], off
	s_wait_xcnt 0x0
	v_add_nc_u64_e32 v[12:13], 1, v[8:9]
	global_store_b64 v[16:17], v[10:11], off
	s_wait_loadcnt 0x0
	global_store_b8 v[14:15], v18, off
	v_mov_b64_e32 v[8:9], v[12:13]
	s_branch .LBB35_3
.LBB35_17:
	s_endpgm
	.section	.rodata,"a",@progbits
	.p2align	6, 0x0
	.amdhsa_kernel _ZN9rocsparseL28internal_extract_fill_kernelILj1024EallEEvT2_PKT1_PKS1_PKT0_21rocsparse_index_base_b20rocsparse_diag_type_S4_PS1_PS7_SA_
		.amdhsa_group_segment_fixed_size 0
		.amdhsa_private_segment_fixed_size 0
		.amdhsa_kernarg_size 336
		.amdhsa_user_sgpr_count 2
		.amdhsa_user_sgpr_dispatch_ptr 0
		.amdhsa_user_sgpr_queue_ptr 0
		.amdhsa_user_sgpr_kernarg_segment_ptr 1
		.amdhsa_user_sgpr_dispatch_id 0
		.amdhsa_user_sgpr_kernarg_preload_length 0
		.amdhsa_user_sgpr_kernarg_preload_offset 0
		.amdhsa_user_sgpr_private_segment_size 0
		.amdhsa_wavefront_size32 1
		.amdhsa_uses_dynamic_stack 0
		.amdhsa_enable_private_segment 0
		.amdhsa_system_sgpr_workgroup_id_x 1
		.amdhsa_system_sgpr_workgroup_id_y 0
		.amdhsa_system_sgpr_workgroup_id_z 0
		.amdhsa_system_sgpr_workgroup_info 0
		.amdhsa_system_vgpr_workitem_id 0
		.amdhsa_next_free_vgpr 19
		.amdhsa_next_free_sgpr 19
		.amdhsa_named_barrier_count 0
		.amdhsa_reserve_vcc 1
		.amdhsa_float_round_mode_32 0
		.amdhsa_float_round_mode_16_64 0
		.amdhsa_float_denorm_mode_32 3
		.amdhsa_float_denorm_mode_16_64 3
		.amdhsa_fp16_overflow 0
		.amdhsa_memory_ordered 1
		.amdhsa_forward_progress 1
		.amdhsa_inst_pref_size 5
		.amdhsa_round_robin_scheduling 0
		.amdhsa_exception_fp_ieee_invalid_op 0
		.amdhsa_exception_fp_denorm_src 0
		.amdhsa_exception_fp_ieee_div_zero 0
		.amdhsa_exception_fp_ieee_overflow 0
		.amdhsa_exception_fp_ieee_underflow 0
		.amdhsa_exception_fp_ieee_inexact 0
		.amdhsa_exception_int_div_zero 0
	.end_amdhsa_kernel
	.section	.text._ZN9rocsparseL28internal_extract_fill_kernelILj1024EallEEvT2_PKT1_PKS1_PKT0_21rocsparse_index_base_b20rocsparse_diag_type_S4_PS1_PS7_SA_,"axG",@progbits,_ZN9rocsparseL28internal_extract_fill_kernelILj1024EallEEvT2_PKT1_PKS1_PKT0_21rocsparse_index_base_b20rocsparse_diag_type_S4_PS1_PS7_SA_,comdat
.Lfunc_end35:
	.size	_ZN9rocsparseL28internal_extract_fill_kernelILj1024EallEEvT2_PKT1_PKS1_PKT0_21rocsparse_index_base_b20rocsparse_diag_type_S4_PS1_PS7_SA_, .Lfunc_end35-_ZN9rocsparseL28internal_extract_fill_kernelILj1024EallEEvT2_PKT1_PKS1_PKT0_21rocsparse_index_base_b20rocsparse_diag_type_S4_PS1_PS7_SA_
                                        ; -- End function
	.set _ZN9rocsparseL28internal_extract_fill_kernelILj1024EallEEvT2_PKT1_PKS1_PKT0_21rocsparse_index_base_b20rocsparse_diag_type_S4_PS1_PS7_SA_.num_vgpr, 19
	.set _ZN9rocsparseL28internal_extract_fill_kernelILj1024EallEEvT2_PKT1_PKS1_PKT0_21rocsparse_index_base_b20rocsparse_diag_type_S4_PS1_PS7_SA_.num_agpr, 0
	.set _ZN9rocsparseL28internal_extract_fill_kernelILj1024EallEEvT2_PKT1_PKS1_PKT0_21rocsparse_index_base_b20rocsparse_diag_type_S4_PS1_PS7_SA_.numbered_sgpr, 19
	.set _ZN9rocsparseL28internal_extract_fill_kernelILj1024EallEEvT2_PKT1_PKS1_PKT0_21rocsparse_index_base_b20rocsparse_diag_type_S4_PS1_PS7_SA_.num_named_barrier, 0
	.set _ZN9rocsparseL28internal_extract_fill_kernelILj1024EallEEvT2_PKT1_PKS1_PKT0_21rocsparse_index_base_b20rocsparse_diag_type_S4_PS1_PS7_SA_.private_seg_size, 0
	.set _ZN9rocsparseL28internal_extract_fill_kernelILj1024EallEEvT2_PKT1_PKS1_PKT0_21rocsparse_index_base_b20rocsparse_diag_type_S4_PS1_PS7_SA_.uses_vcc, 1
	.set _ZN9rocsparseL28internal_extract_fill_kernelILj1024EallEEvT2_PKT1_PKS1_PKT0_21rocsparse_index_base_b20rocsparse_diag_type_S4_PS1_PS7_SA_.uses_flat_scratch, 0
	.set _ZN9rocsparseL28internal_extract_fill_kernelILj1024EallEEvT2_PKT1_PKS1_PKT0_21rocsparse_index_base_b20rocsparse_diag_type_S4_PS1_PS7_SA_.has_dyn_sized_stack, 0
	.set _ZN9rocsparseL28internal_extract_fill_kernelILj1024EallEEvT2_PKT1_PKS1_PKT0_21rocsparse_index_base_b20rocsparse_diag_type_S4_PS1_PS7_SA_.has_recursion, 0
	.set _ZN9rocsparseL28internal_extract_fill_kernelILj1024EallEEvT2_PKT1_PKS1_PKT0_21rocsparse_index_base_b20rocsparse_diag_type_S4_PS1_PS7_SA_.has_indirect_call, 0
	.section	.AMDGPU.csdata,"",@progbits
; Kernel info:
; codeLenInByte = 604
; TotalNumSgprs: 21
; NumVgprs: 19
; ScratchSize: 0
; MemoryBound: 0
; FloatMode: 240
; IeeeMode: 1
; LDSByteSize: 0 bytes/workgroup (compile time only)
; SGPRBlocks: 0
; VGPRBlocks: 1
; NumSGPRsForWavesPerEU: 21
; NumVGPRsForWavesPerEU: 19
; NamedBarCnt: 0
; Occupancy: 16
; WaveLimiterHint : 0
; COMPUTE_PGM_RSRC2:SCRATCH_EN: 0
; COMPUTE_PGM_RSRC2:USER_SGPR: 2
; COMPUTE_PGM_RSRC2:TRAP_HANDLER: 0
; COMPUTE_PGM_RSRC2:TGID_X_EN: 1
; COMPUTE_PGM_RSRC2:TGID_Y_EN: 0
; COMPUTE_PGM_RSRC2:TGID_Z_EN: 0
; COMPUTE_PGM_RSRC2:TIDIG_COMP_CNT: 0
	.section	.text._ZN9rocsparseL28internal_extract_fill_kernelILj1024EhiiEEvT2_PKT1_PKS1_PKT0_21rocsparse_index_base_b20rocsparse_diag_type_S4_PS1_PS7_SA_,"axG",@progbits,_ZN9rocsparseL28internal_extract_fill_kernelILj1024EhiiEEvT2_PKT1_PKS1_PKT0_21rocsparse_index_base_b20rocsparse_diag_type_S4_PS1_PS7_SA_,comdat
	.globl	_ZN9rocsparseL28internal_extract_fill_kernelILj1024EhiiEEvT2_PKT1_PKS1_PKT0_21rocsparse_index_base_b20rocsparse_diag_type_S4_PS1_PS7_SA_ ; -- Begin function _ZN9rocsparseL28internal_extract_fill_kernelILj1024EhiiEEvT2_PKT1_PKS1_PKT0_21rocsparse_index_base_b20rocsparse_diag_type_S4_PS1_PS7_SA_
	.p2align	8
	.type	_ZN9rocsparseL28internal_extract_fill_kernelILj1024EhiiEEvT2_PKT1_PKS1_PKT0_21rocsparse_index_base_b20rocsparse_diag_type_S4_PS1_PS7_SA_,@function
_ZN9rocsparseL28internal_extract_fill_kernelILj1024EhiiEEvT2_PKT1_PKS1_PKT0_21rocsparse_index_base_b20rocsparse_diag_type_S4_PS1_PS7_SA_: ; @_ZN9rocsparseL28internal_extract_fill_kernelILj1024EhiiEEvT2_PKT1_PKS1_PKT0_21rocsparse_index_base_b20rocsparse_diag_type_S4_PS1_PS7_SA_
; %bb.0:
	s_clause 0x1
	s_load_b32 s2, s[0:1], 0x5c
	s_load_b32 s3, s[0:1], 0x0
	s_bfe_u32 s4, ttmp6, 0x4000c
	s_and_b32 s5, ttmp6, 15
	s_add_co_i32 s4, s4, 1
	s_getreg_b32 s6, hwreg(HW_REG_IB_STS2, 6, 4)
	s_mul_i32 s4, ttmp9, s4
	s_delay_alu instid0(SALU_CYCLE_1) | instskip(SKIP_4) | instid1(SALU_CYCLE_1)
	s_add_co_i32 s5, s5, s4
	s_wait_kmcnt 0x0
	s_and_b32 s2, s2, 0xffff
	s_cmp_eq_u32 s6, 0
	s_cselect_b32 s4, ttmp9, s5
	v_mad_u32 v0, s4, s2, v0
	s_mov_b32 s2, exec_lo
	s_delay_alu instid0(VALU_DEP_1)
	v_cmpx_gt_i32_e64 s3, v0
	s_cbranch_execz .LBB36_17
; %bb.1:
	s_load_b64 s[2:3], s[0:1], 0x8
	v_ashrrev_i32_e32 v1, 31, v0
	s_wait_kmcnt 0x0
	s_delay_alu instid0(VALU_DEP_1)
	v_lshl_add_u64 v[2:3], v[0:1], 2, s[2:3]
	global_load_b64 v[4:5], v[2:3], off
	s_wait_loadcnt 0x0
	v_cmp_lt_i32_e32 vcc_lo, v4, v5
	s_and_b32 exec_lo, exec_lo, vcc_lo
	s_cbranch_execz .LBB36_17
; %bb.2:
	s_load_b128 s[4:7], s[0:1], 0x30
	s_mov_b32 s2, 0
	s_wait_kmcnt 0x0
	v_lshl_add_u64 v[2:3], v[0:1], 2, s[4:5]
	global_load_b32 v6, v[2:3], off
	s_clause 0x2
	s_load_b96 s[8:10], s[0:1], 0x20
	s_load_b128 s[16:19], s[0:1], 0x10
	s_load_b96 s[12:14], s[0:1], 0x40
	s_wait_kmcnt 0x0
	v_subrev_nc_u32_e32 v2, s8, v4
	s_bitcmp1_b32 s9, 0
	v_subrev_nc_u32_e32 v1, s8, v5
	s_cselect_b32 s0, -1, 0
	s_delay_alu instid0(VALU_DEP_2) | instskip(SKIP_3) | instid1(VALU_DEP_1)
	v_ashrrev_i32_e32 v3, 31, v2
	s_xor_b32 s0, s0, -1
	s_cmp_lg_u32 s10, 1
	s_cselect_b32 s1, -1, 0
	v_add_nc_u64_e32 v[4:5], s[18:19], v[2:3]
	s_wait_loadcnt 0x0
	v_subrev_nc_u32_e32 v8, s14, v6
	v_lshl_add_u64 v[6:7], v[2:3], 2, s[16:17]
	s_branch .LBB36_4
.LBB36_3:                               ;   in Loop: Header=BB36_4 Depth=1
	s_or_b32 exec_lo, exec_lo, s4
	v_add_nc_u32_e32 v2, 1, v2
	v_add_nc_u64_e32 v[6:7], 4, v[6:7]
	v_add_nc_u64_e32 v[4:5], 1, v[4:5]
	s_delay_alu instid0(VALU_DEP_3) | instskip(SKIP_1) | instid1(SALU_CYCLE_1)
	v_cmp_ge_i32_e32 vcc_lo, v2, v1
	s_or_b32 s2, vcc_lo, s2
	s_and_not1_b32 exec_lo, exec_lo, s2
	s_cbranch_execz .LBB36_17
.LBB36_4:                               ; =>This Inner Loop Header: Depth=1
	global_load_b32 v3, v[6:7], off
	s_and_b32 vcc_lo, exec_lo, s0
	s_mov_b32 s4, -1
                                        ; implicit-def: $sgpr3
	s_wait_loadcnt 0x0
	v_subrev_nc_u32_e32 v3, s8, v3
	s_cbranch_vccz .LBB36_10
; %bb.5:                                ;   in Loop: Header=BB36_4 Depth=1
	s_and_b32 vcc_lo, exec_lo, s1
                                        ; implicit-def: $sgpr3
	s_cbranch_vccz .LBB36_7
; %bb.6:                                ;   in Loop: Header=BB36_4 Depth=1
	s_delay_alu instid0(VALU_DEP_1)
	v_cmp_le_i32_e64 s3, v0, v3
	s_mov_b32 s4, 0
.LBB36_7:                               ;   in Loop: Header=BB36_4 Depth=1
	s_delay_alu instid0(SALU_CYCLE_1)
	s_and_not1_b32 vcc_lo, exec_lo, s4
	s_cbranch_vccnz .LBB36_9
; %bb.8:                                ;   in Loop: Header=BB36_4 Depth=1
	v_cmp_lt_i32_e32 vcc_lo, v0, v3
	s_and_not1_b32 s3, s3, exec_lo
	s_and_b32 s4, vcc_lo, exec_lo
	s_delay_alu instid0(SALU_CYCLE_1)
	s_or_b32 s3, s3, s4
.LBB36_9:                               ;   in Loop: Header=BB36_4 Depth=1
	s_mov_b32 s4, 0
.LBB36_10:                              ;   in Loop: Header=BB36_4 Depth=1
	s_delay_alu instid0(SALU_CYCLE_1)
	s_and_not1_b32 vcc_lo, exec_lo, s4
	s_cbranch_vccnz .LBB36_15
; %bb.11:                               ;   in Loop: Header=BB36_4 Depth=1
	s_and_b32 vcc_lo, exec_lo, s1
	s_mov_b32 s4, -1
                                        ; implicit-def: $sgpr3
	s_cbranch_vccz .LBB36_13
; %bb.12:                               ;   in Loop: Header=BB36_4 Depth=1
	v_cmp_ge_i32_e64 s3, v0, v3
	s_mov_b32 s4, 0
.LBB36_13:                              ;   in Loop: Header=BB36_4 Depth=1
	s_delay_alu instid0(SALU_CYCLE_1)
	s_and_not1_b32 vcc_lo, exec_lo, s4
	s_cbranch_vccnz .LBB36_15
; %bb.14:                               ;   in Loop: Header=BB36_4 Depth=1
	v_cmp_gt_i32_e32 vcc_lo, v0, v3
	s_and_not1_b32 s3, s3, exec_lo
	s_and_b32 s4, vcc_lo, exec_lo
	s_delay_alu instid0(SALU_CYCLE_1)
	s_or_b32 s3, s3, s4
.LBB36_15:                              ;   in Loop: Header=BB36_4 Depth=1
	s_wait_xcnt 0x0
	s_and_saveexec_b32 s4, s3
	s_cbranch_execz .LBB36_3
; %bb.16:                               ;   in Loop: Header=BB36_4 Depth=1
	global_load_u8 v9, v[4:5], off
	v_dual_add_nc_u32 v3, s14, v3 :: v_dual_add_nc_u32 v10, 1, v8
	global_store_b32 v8, v3, s[6:7] scale_offset
	s_wait_loadcnt 0x0
	global_store_b8 v8, v9, s[12:13]
	s_wait_xcnt 0x0
	v_mov_b32_e32 v8, v10
	s_branch .LBB36_3
.LBB36_17:
	s_endpgm
	.section	.rodata,"a",@progbits
	.p2align	6, 0x0
	.amdhsa_kernel _ZN9rocsparseL28internal_extract_fill_kernelILj1024EhiiEEvT2_PKT1_PKS1_PKT0_21rocsparse_index_base_b20rocsparse_diag_type_S4_PS1_PS7_SA_
		.amdhsa_group_segment_fixed_size 0
		.amdhsa_private_segment_fixed_size 0
		.amdhsa_kernarg_size 336
		.amdhsa_user_sgpr_count 2
		.amdhsa_user_sgpr_dispatch_ptr 0
		.amdhsa_user_sgpr_queue_ptr 0
		.amdhsa_user_sgpr_kernarg_segment_ptr 1
		.amdhsa_user_sgpr_dispatch_id 0
		.amdhsa_user_sgpr_kernarg_preload_length 0
		.amdhsa_user_sgpr_kernarg_preload_offset 0
		.amdhsa_user_sgpr_private_segment_size 0
		.amdhsa_wavefront_size32 1
		.amdhsa_uses_dynamic_stack 0
		.amdhsa_enable_private_segment 0
		.amdhsa_system_sgpr_workgroup_id_x 1
		.amdhsa_system_sgpr_workgroup_id_y 0
		.amdhsa_system_sgpr_workgroup_id_z 0
		.amdhsa_system_sgpr_workgroup_info 0
		.amdhsa_system_vgpr_workitem_id 0
		.amdhsa_next_free_vgpr 11
		.amdhsa_next_free_sgpr 20
		.amdhsa_named_barrier_count 0
		.amdhsa_reserve_vcc 1
		.amdhsa_float_round_mode_32 0
		.amdhsa_float_round_mode_16_64 0
		.amdhsa_float_denorm_mode_32 3
		.amdhsa_float_denorm_mode_16_64 3
		.amdhsa_fp16_overflow 0
		.amdhsa_memory_ordered 1
		.amdhsa_forward_progress 1
		.amdhsa_inst_pref_size 5
		.amdhsa_round_robin_scheduling 0
		.amdhsa_exception_fp_ieee_invalid_op 0
		.amdhsa_exception_fp_denorm_src 0
		.amdhsa_exception_fp_ieee_div_zero 0
		.amdhsa_exception_fp_ieee_overflow 0
		.amdhsa_exception_fp_ieee_underflow 0
		.amdhsa_exception_fp_ieee_inexact 0
		.amdhsa_exception_int_div_zero 0
	.end_amdhsa_kernel
	.section	.text._ZN9rocsparseL28internal_extract_fill_kernelILj1024EhiiEEvT2_PKT1_PKS1_PKT0_21rocsparse_index_base_b20rocsparse_diag_type_S4_PS1_PS7_SA_,"axG",@progbits,_ZN9rocsparseL28internal_extract_fill_kernelILj1024EhiiEEvT2_PKT1_PKS1_PKT0_21rocsparse_index_base_b20rocsparse_diag_type_S4_PS1_PS7_SA_,comdat
.Lfunc_end36:
	.size	_ZN9rocsparseL28internal_extract_fill_kernelILj1024EhiiEEvT2_PKT1_PKS1_PKT0_21rocsparse_index_base_b20rocsparse_diag_type_S4_PS1_PS7_SA_, .Lfunc_end36-_ZN9rocsparseL28internal_extract_fill_kernelILj1024EhiiEEvT2_PKT1_PKS1_PKT0_21rocsparse_index_base_b20rocsparse_diag_type_S4_PS1_PS7_SA_
                                        ; -- End function
	.set _ZN9rocsparseL28internal_extract_fill_kernelILj1024EhiiEEvT2_PKT1_PKS1_PKT0_21rocsparse_index_base_b20rocsparse_diag_type_S4_PS1_PS7_SA_.num_vgpr, 11
	.set _ZN9rocsparseL28internal_extract_fill_kernelILj1024EhiiEEvT2_PKT1_PKS1_PKT0_21rocsparse_index_base_b20rocsparse_diag_type_S4_PS1_PS7_SA_.num_agpr, 0
	.set _ZN9rocsparseL28internal_extract_fill_kernelILj1024EhiiEEvT2_PKT1_PKS1_PKT0_21rocsparse_index_base_b20rocsparse_diag_type_S4_PS1_PS7_SA_.numbered_sgpr, 20
	.set _ZN9rocsparseL28internal_extract_fill_kernelILj1024EhiiEEvT2_PKT1_PKS1_PKT0_21rocsparse_index_base_b20rocsparse_diag_type_S4_PS1_PS7_SA_.num_named_barrier, 0
	.set _ZN9rocsparseL28internal_extract_fill_kernelILj1024EhiiEEvT2_PKT1_PKS1_PKT0_21rocsparse_index_base_b20rocsparse_diag_type_S4_PS1_PS7_SA_.private_seg_size, 0
	.set _ZN9rocsparseL28internal_extract_fill_kernelILj1024EhiiEEvT2_PKT1_PKS1_PKT0_21rocsparse_index_base_b20rocsparse_diag_type_S4_PS1_PS7_SA_.uses_vcc, 1
	.set _ZN9rocsparseL28internal_extract_fill_kernelILj1024EhiiEEvT2_PKT1_PKS1_PKT0_21rocsparse_index_base_b20rocsparse_diag_type_S4_PS1_PS7_SA_.uses_flat_scratch, 0
	.set _ZN9rocsparseL28internal_extract_fill_kernelILj1024EhiiEEvT2_PKT1_PKS1_PKT0_21rocsparse_index_base_b20rocsparse_diag_type_S4_PS1_PS7_SA_.has_dyn_sized_stack, 0
	.set _ZN9rocsparseL28internal_extract_fill_kernelILj1024EhiiEEvT2_PKT1_PKS1_PKT0_21rocsparse_index_base_b20rocsparse_diag_type_S4_PS1_PS7_SA_.has_recursion, 0
	.set _ZN9rocsparseL28internal_extract_fill_kernelILj1024EhiiEEvT2_PKT1_PKS1_PKT0_21rocsparse_index_base_b20rocsparse_diag_type_S4_PS1_PS7_SA_.has_indirect_call, 0
	.section	.AMDGPU.csdata,"",@progbits
; Kernel info:
; codeLenInByte = 560
; TotalNumSgprs: 22
; NumVgprs: 11
; ScratchSize: 0
; MemoryBound: 0
; FloatMode: 240
; IeeeMode: 1
; LDSByteSize: 0 bytes/workgroup (compile time only)
; SGPRBlocks: 0
; VGPRBlocks: 0
; NumSGPRsForWavesPerEU: 22
; NumVGPRsForWavesPerEU: 11
; NamedBarCnt: 0
; Occupancy: 16
; WaveLimiterHint : 0
; COMPUTE_PGM_RSRC2:SCRATCH_EN: 0
; COMPUTE_PGM_RSRC2:USER_SGPR: 2
; COMPUTE_PGM_RSRC2:TRAP_HANDLER: 0
; COMPUTE_PGM_RSRC2:TGID_X_EN: 1
; COMPUTE_PGM_RSRC2:TGID_Y_EN: 0
; COMPUTE_PGM_RSRC2:TGID_Z_EN: 0
; COMPUTE_PGM_RSRC2:TIDIG_COMP_CNT: 0
	.section	.text._ZN9rocsparseL28internal_extract_fill_kernelILj1024EhilEEvT2_PKT1_PKS1_PKT0_21rocsparse_index_base_b20rocsparse_diag_type_S4_PS1_PS7_SA_,"axG",@progbits,_ZN9rocsparseL28internal_extract_fill_kernelILj1024EhilEEvT2_PKT1_PKS1_PKT0_21rocsparse_index_base_b20rocsparse_diag_type_S4_PS1_PS7_SA_,comdat
	.globl	_ZN9rocsparseL28internal_extract_fill_kernelILj1024EhilEEvT2_PKT1_PKS1_PKT0_21rocsparse_index_base_b20rocsparse_diag_type_S4_PS1_PS7_SA_ ; -- Begin function _ZN9rocsparseL28internal_extract_fill_kernelILj1024EhilEEvT2_PKT1_PKS1_PKT0_21rocsparse_index_base_b20rocsparse_diag_type_S4_PS1_PS7_SA_
	.p2align	8
	.type	_ZN9rocsparseL28internal_extract_fill_kernelILj1024EhilEEvT2_PKT1_PKS1_PKT0_21rocsparse_index_base_b20rocsparse_diag_type_S4_PS1_PS7_SA_,@function
_ZN9rocsparseL28internal_extract_fill_kernelILj1024EhilEEvT2_PKT1_PKS1_PKT0_21rocsparse_index_base_b20rocsparse_diag_type_S4_PS1_PS7_SA_: ; @_ZN9rocsparseL28internal_extract_fill_kernelILj1024EhilEEvT2_PKT1_PKS1_PKT0_21rocsparse_index_base_b20rocsparse_diag_type_S4_PS1_PS7_SA_
; %bb.0:
	s_clause 0x1
	s_load_b32 s4, s[0:1], 0x5c
	s_load_b64 s[2:3], s[0:1], 0x0
	s_bfe_u32 s5, ttmp6, 0x4000c
	s_and_b32 s6, ttmp6, 15
	s_add_co_i32 s5, s5, 1
	s_getreg_b32 s7, hwreg(HW_REG_IB_STS2, 6, 4)
	s_mul_i32 s5, ttmp9, s5
	s_delay_alu instid0(SALU_CYCLE_1) | instskip(SKIP_4) | instid1(SALU_CYCLE_1)
	s_add_co_i32 s6, s6, s5
	s_wait_kmcnt 0x0
	s_and_b32 s4, s4, 0xffff
	s_cmp_eq_u32 s7, 0
	s_cselect_b32 s5, ttmp9, s6
	v_mad_u32 v0, s5, s4, v0
	s_delay_alu instid0(VALU_DEP_1) | instskip(NEXT) | instid1(VALU_DEP_1)
	v_ashrrev_i32_e32 v1, 31, v0
	v_cmp_gt_i64_e32 vcc_lo, s[2:3], v[0:1]
	s_and_saveexec_b32 s2, vcc_lo
	s_cbranch_execz .LBB37_17
; %bb.1:
	s_load_b64 s[2:3], s[0:1], 0x8
	s_wait_kmcnt 0x0
	v_lshl_add_u64 v[2:3], v[0:1], 2, s[2:3]
	global_load_b64 v[2:3], v[2:3], off
	s_wait_loadcnt 0x0
	v_cmp_lt_i32_e32 vcc_lo, v2, v3
	s_and_b32 exec_lo, exec_lo, vcc_lo
	s_cbranch_execz .LBB37_17
; %bb.2:
	s_load_b128 s[4:7], s[0:1], 0x30
	s_wait_kmcnt 0x0
	v_lshl_add_u64 v[4:5], v[0:1], 2, s[4:5]
	global_load_b32 v6, v[4:5], off
	s_clause 0x2
	s_load_b96 s[8:10], s[0:1], 0x20
	s_load_b96 s[12:14], s[0:1], 0x40
	s_load_b128 s[16:19], s[0:1], 0x10
	s_wait_xcnt 0x0
	s_mov_b32 s1, 0
	s_delay_alu instid0(SALU_CYCLE_1)
	s_mov_b32 s4, s1
	s_wait_kmcnt 0x0
	v_subrev_nc_u32_e32 v2, s8, v2
	v_subrev_nc_u32_e32 v10, s8, v3
	s_bitcmp1_b32 s9, 0
	s_mov_b32 s0, s14
	s_cselect_b32 s2, -1, 0
	v_ashrrev_i32_e32 v3, 31, v2
	s_xor_b32 s2, s2, -1
	s_cmp_lg_u32 s10, 1
	s_mov_b32 s9, s1
	s_cselect_b32 s3, -1, 0
	v_add_nc_u64_e32 v[4:5], s[18:19], v[2:3]
	s_wait_loadcnt 0x0
	v_subrev_nc_u32_e32 v11, s14, v6
	v_lshl_add_u64 v[6:7], v[2:3], 3, s[16:17]
	s_branch .LBB37_4
.LBB37_3:                               ;   in Loop: Header=BB37_4 Depth=1
	s_or_b32 exec_lo, exec_lo, s10
	v_add_nc_u32_e32 v2, 1, v2
	v_add_nc_u64_e32 v[6:7], 8, v[6:7]
	v_add_nc_u64_e32 v[4:5], 1, v[4:5]
	s_delay_alu instid0(VALU_DEP_3) | instskip(SKIP_1) | instid1(SALU_CYCLE_1)
	v_cmp_ge_i32_e32 vcc_lo, v2, v10
	s_or_b32 s4, vcc_lo, s4
	s_and_not1_b32 exec_lo, exec_lo, s4
	s_cbranch_execz .LBB37_17
.LBB37_4:                               ; =>This Inner Loop Header: Depth=1
	global_load_b64 v[8:9], v[6:7], off
	s_and_b32 vcc_lo, exec_lo, s2
	s_mov_b32 s10, -1
                                        ; implicit-def: $sgpr5
	s_wait_loadcnt 0x0
	v_sub_nc_u64_e64 v[8:9], v[8:9], s[8:9]
	s_cbranch_vccz .LBB37_10
; %bb.5:                                ;   in Loop: Header=BB37_4 Depth=1
	s_and_b32 vcc_lo, exec_lo, s3
                                        ; implicit-def: $sgpr5
	s_cbranch_vccz .LBB37_7
; %bb.6:                                ;   in Loop: Header=BB37_4 Depth=1
	s_delay_alu instid0(VALU_DEP_1)
	v_cmp_ge_i64_e64 s5, v[8:9], v[0:1]
	s_mov_b32 s10, 0
.LBB37_7:                               ;   in Loop: Header=BB37_4 Depth=1
	s_delay_alu instid0(SALU_CYCLE_1)
	s_and_not1_b32 vcc_lo, exec_lo, s10
	s_cbranch_vccnz .LBB37_9
; %bb.8:                                ;   in Loop: Header=BB37_4 Depth=1
	s_delay_alu instid0(VALU_DEP_1) | instskip(SKIP_2) | instid1(SALU_CYCLE_1)
	v_cmp_gt_i64_e32 vcc_lo, v[8:9], v[0:1]
	s_and_not1_b32 s5, s5, exec_lo
	s_and_b32 s10, vcc_lo, exec_lo
	s_or_b32 s5, s5, s10
.LBB37_9:                               ;   in Loop: Header=BB37_4 Depth=1
	s_mov_b32 s10, 0
.LBB37_10:                              ;   in Loop: Header=BB37_4 Depth=1
	s_delay_alu instid0(SALU_CYCLE_1)
	s_and_not1_b32 vcc_lo, exec_lo, s10
	s_cbranch_vccnz .LBB37_15
; %bb.11:                               ;   in Loop: Header=BB37_4 Depth=1
	s_and_b32 vcc_lo, exec_lo, s3
	s_mov_b32 s10, -1
                                        ; implicit-def: $sgpr5
	s_cbranch_vccz .LBB37_13
; %bb.12:                               ;   in Loop: Header=BB37_4 Depth=1
	v_cmp_le_i64_e64 s5, v[8:9], v[0:1]
	s_mov_b32 s10, 0
.LBB37_13:                              ;   in Loop: Header=BB37_4 Depth=1
	s_delay_alu instid0(SALU_CYCLE_1)
	s_and_not1_b32 vcc_lo, exec_lo, s10
	s_cbranch_vccnz .LBB37_15
; %bb.14:                               ;   in Loop: Header=BB37_4 Depth=1
	v_cmp_lt_i64_e32 vcc_lo, v[8:9], v[0:1]
	s_and_not1_b32 s5, s5, exec_lo
	s_and_b32 s10, vcc_lo, exec_lo
	s_delay_alu instid0(SALU_CYCLE_1)
	s_or_b32 s5, s5, s10
.LBB37_15:                              ;   in Loop: Header=BB37_4 Depth=1
	s_wait_xcnt 0x0
	s_and_saveexec_b32 s10, s5
	s_cbranch_execz .LBB37_3
; %bb.16:                               ;   in Loop: Header=BB37_4 Depth=1
	global_load_u8 v3, v[4:5], off
	v_add_nc_u64_e32 v[8:9], s[0:1], v[8:9]
	v_add_nc_u32_e32 v12, 1, v11
	global_store_b64 v11, v[8:9], s[6:7] scale_offset
	s_wait_loadcnt 0x0
	global_store_b8 v11, v3, s[12:13]
	s_wait_xcnt 0x0
	v_mov_b32_e32 v11, v12
	s_branch .LBB37_3
.LBB37_17:
	s_endpgm
	.section	.rodata,"a",@progbits
	.p2align	6, 0x0
	.amdhsa_kernel _ZN9rocsparseL28internal_extract_fill_kernelILj1024EhilEEvT2_PKT1_PKS1_PKT0_21rocsparse_index_base_b20rocsparse_diag_type_S4_PS1_PS7_SA_
		.amdhsa_group_segment_fixed_size 0
		.amdhsa_private_segment_fixed_size 0
		.amdhsa_kernarg_size 336
		.amdhsa_user_sgpr_count 2
		.amdhsa_user_sgpr_dispatch_ptr 0
		.amdhsa_user_sgpr_queue_ptr 0
		.amdhsa_user_sgpr_kernarg_segment_ptr 1
		.amdhsa_user_sgpr_dispatch_id 0
		.amdhsa_user_sgpr_kernarg_preload_length 0
		.amdhsa_user_sgpr_kernarg_preload_offset 0
		.amdhsa_user_sgpr_private_segment_size 0
		.amdhsa_wavefront_size32 1
		.amdhsa_uses_dynamic_stack 0
		.amdhsa_enable_private_segment 0
		.amdhsa_system_sgpr_workgroup_id_x 1
		.amdhsa_system_sgpr_workgroup_id_y 0
		.amdhsa_system_sgpr_workgroup_id_z 0
		.amdhsa_system_sgpr_workgroup_info 0
		.amdhsa_system_vgpr_workitem_id 0
		.amdhsa_next_free_vgpr 13
		.amdhsa_next_free_sgpr 20
		.amdhsa_named_barrier_count 0
		.amdhsa_reserve_vcc 1
		.amdhsa_float_round_mode_32 0
		.amdhsa_float_round_mode_16_64 0
		.amdhsa_float_denorm_mode_32 3
		.amdhsa_float_denorm_mode_16_64 3
		.amdhsa_fp16_overflow 0
		.amdhsa_memory_ordered 1
		.amdhsa_forward_progress 1
		.amdhsa_inst_pref_size 5
		.amdhsa_round_robin_scheduling 0
		.amdhsa_exception_fp_ieee_invalid_op 0
		.amdhsa_exception_fp_denorm_src 0
		.amdhsa_exception_fp_ieee_div_zero 0
		.amdhsa_exception_fp_ieee_overflow 0
		.amdhsa_exception_fp_ieee_underflow 0
		.amdhsa_exception_fp_ieee_inexact 0
		.amdhsa_exception_int_div_zero 0
	.end_amdhsa_kernel
	.section	.text._ZN9rocsparseL28internal_extract_fill_kernelILj1024EhilEEvT2_PKT1_PKS1_PKT0_21rocsparse_index_base_b20rocsparse_diag_type_S4_PS1_PS7_SA_,"axG",@progbits,_ZN9rocsparseL28internal_extract_fill_kernelILj1024EhilEEvT2_PKT1_PKS1_PKT0_21rocsparse_index_base_b20rocsparse_diag_type_S4_PS1_PS7_SA_,comdat
.Lfunc_end37:
	.size	_ZN9rocsparseL28internal_extract_fill_kernelILj1024EhilEEvT2_PKT1_PKS1_PKT0_21rocsparse_index_base_b20rocsparse_diag_type_S4_PS1_PS7_SA_, .Lfunc_end37-_ZN9rocsparseL28internal_extract_fill_kernelILj1024EhilEEvT2_PKT1_PKS1_PKT0_21rocsparse_index_base_b20rocsparse_diag_type_S4_PS1_PS7_SA_
                                        ; -- End function
	.set _ZN9rocsparseL28internal_extract_fill_kernelILj1024EhilEEvT2_PKT1_PKS1_PKT0_21rocsparse_index_base_b20rocsparse_diag_type_S4_PS1_PS7_SA_.num_vgpr, 13
	.set _ZN9rocsparseL28internal_extract_fill_kernelILj1024EhilEEvT2_PKT1_PKS1_PKT0_21rocsparse_index_base_b20rocsparse_diag_type_S4_PS1_PS7_SA_.num_agpr, 0
	.set _ZN9rocsparseL28internal_extract_fill_kernelILj1024EhilEEvT2_PKT1_PKS1_PKT0_21rocsparse_index_base_b20rocsparse_diag_type_S4_PS1_PS7_SA_.numbered_sgpr, 20
	.set _ZN9rocsparseL28internal_extract_fill_kernelILj1024EhilEEvT2_PKT1_PKS1_PKT0_21rocsparse_index_base_b20rocsparse_diag_type_S4_PS1_PS7_SA_.num_named_barrier, 0
	.set _ZN9rocsparseL28internal_extract_fill_kernelILj1024EhilEEvT2_PKT1_PKS1_PKT0_21rocsparse_index_base_b20rocsparse_diag_type_S4_PS1_PS7_SA_.private_seg_size, 0
	.set _ZN9rocsparseL28internal_extract_fill_kernelILj1024EhilEEvT2_PKT1_PKS1_PKT0_21rocsparse_index_base_b20rocsparse_diag_type_S4_PS1_PS7_SA_.uses_vcc, 1
	.set _ZN9rocsparseL28internal_extract_fill_kernelILj1024EhilEEvT2_PKT1_PKS1_PKT0_21rocsparse_index_base_b20rocsparse_diag_type_S4_PS1_PS7_SA_.uses_flat_scratch, 0
	.set _ZN9rocsparseL28internal_extract_fill_kernelILj1024EhilEEvT2_PKT1_PKS1_PKT0_21rocsparse_index_base_b20rocsparse_diag_type_S4_PS1_PS7_SA_.has_dyn_sized_stack, 0
	.set _ZN9rocsparseL28internal_extract_fill_kernelILj1024EhilEEvT2_PKT1_PKS1_PKT0_21rocsparse_index_base_b20rocsparse_diag_type_S4_PS1_PS7_SA_.has_recursion, 0
	.set _ZN9rocsparseL28internal_extract_fill_kernelILj1024EhilEEvT2_PKT1_PKS1_PKT0_21rocsparse_index_base_b20rocsparse_diag_type_S4_PS1_PS7_SA_.has_indirect_call, 0
	.section	.AMDGPU.csdata,"",@progbits
; Kernel info:
; codeLenInByte = 568
; TotalNumSgprs: 22
; NumVgprs: 13
; ScratchSize: 0
; MemoryBound: 0
; FloatMode: 240
; IeeeMode: 1
; LDSByteSize: 0 bytes/workgroup (compile time only)
; SGPRBlocks: 0
; VGPRBlocks: 0
; NumSGPRsForWavesPerEU: 22
; NumVGPRsForWavesPerEU: 13
; NamedBarCnt: 0
; Occupancy: 16
; WaveLimiterHint : 0
; COMPUTE_PGM_RSRC2:SCRATCH_EN: 0
; COMPUTE_PGM_RSRC2:USER_SGPR: 2
; COMPUTE_PGM_RSRC2:TRAP_HANDLER: 0
; COMPUTE_PGM_RSRC2:TGID_X_EN: 1
; COMPUTE_PGM_RSRC2:TGID_Y_EN: 0
; COMPUTE_PGM_RSRC2:TGID_Z_EN: 0
; COMPUTE_PGM_RSRC2:TIDIG_COMP_CNT: 0
	.section	.text._ZN9rocsparseL28internal_extract_fill_kernelILj1024EhliEEvT2_PKT1_PKS1_PKT0_21rocsparse_index_base_b20rocsparse_diag_type_S4_PS1_PS7_SA_,"axG",@progbits,_ZN9rocsparseL28internal_extract_fill_kernelILj1024EhliEEvT2_PKT1_PKS1_PKT0_21rocsparse_index_base_b20rocsparse_diag_type_S4_PS1_PS7_SA_,comdat
	.globl	_ZN9rocsparseL28internal_extract_fill_kernelILj1024EhliEEvT2_PKT1_PKS1_PKT0_21rocsparse_index_base_b20rocsparse_diag_type_S4_PS1_PS7_SA_ ; -- Begin function _ZN9rocsparseL28internal_extract_fill_kernelILj1024EhliEEvT2_PKT1_PKS1_PKT0_21rocsparse_index_base_b20rocsparse_diag_type_S4_PS1_PS7_SA_
	.p2align	8
	.type	_ZN9rocsparseL28internal_extract_fill_kernelILj1024EhliEEvT2_PKT1_PKS1_PKT0_21rocsparse_index_base_b20rocsparse_diag_type_S4_PS1_PS7_SA_,@function
_ZN9rocsparseL28internal_extract_fill_kernelILj1024EhliEEvT2_PKT1_PKS1_PKT0_21rocsparse_index_base_b20rocsparse_diag_type_S4_PS1_PS7_SA_: ; @_ZN9rocsparseL28internal_extract_fill_kernelILj1024EhliEEvT2_PKT1_PKS1_PKT0_21rocsparse_index_base_b20rocsparse_diag_type_S4_PS1_PS7_SA_
; %bb.0:
	s_clause 0x1
	s_load_b32 s2, s[0:1], 0x0
	s_load_b32 s4, s[0:1], 0x5c
	s_bfe_u32 s3, ttmp6, 0x4000c
	s_and_b32 s5, ttmp6, 15
	s_add_co_i32 s3, s3, 1
	s_getreg_b32 s6, hwreg(HW_REG_IB_STS2, 6, 4)
	s_mul_i32 s7, ttmp9, s3
	v_mov_b32_e32 v5, 0
	s_add_co_i32 s5, s5, s7
	s_wait_kmcnt 0x0
	s_ashr_i32 s3, s2, 31
	s_and_b32 s4, s4, 0xffff
	s_cmp_eq_u32 s6, 0
	s_cselect_b32 s5, ttmp9, s5
	s_delay_alu instid0(SALU_CYCLE_1) | instskip(NEXT) | instid1(VALU_DEP_1)
	v_mad_u32 v4, s5, s4, v0
	v_cmp_gt_i64_e32 vcc_lo, s[2:3], v[4:5]
	s_and_saveexec_b32 s2, vcc_lo
	s_cbranch_execz .LBB38_17
; %bb.1:
	s_load_b64 s[2:3], s[0:1], 0x8
	s_wait_kmcnt 0x0
	v_lshl_add_u64 v[0:1], v[4:5], 3, s[2:3]
	global_load_b128 v[0:3], v[0:1], off
	s_wait_loadcnt 0x0
	v_cmp_lt_i64_e32 vcc_lo, v[0:1], v[2:3]
	s_and_b32 exec_lo, exec_lo, vcc_lo
	s_cbranch_execz .LBB38_17
; %bb.2:
	s_load_b128 s[4:7], s[0:1], 0x30
	v_lshlrev_b64_e32 v[8:9], 2, v[0:1]
	s_wait_kmcnt 0x0
	v_lshl_add_u64 v[6:7], v[4:5], 3, s[4:5]
	global_load_b64 v[6:7], v[6:7], off
	s_clause 0x2
	s_load_b96 s[12:14], s[0:1], 0x20
	s_load_b96 s[16:18], s[0:1], 0x40
	s_load_b128 s[8:11], s[0:1], 0x10
	s_wait_xcnt 0x0
	s_mov_b32 s1, 0
	s_wait_kmcnt 0x0
	s_bitcmp1_b32 s13, 0
	s_cselect_b32 s0, -1, 0
	s_delay_alu instid0(SALU_CYCLE_1)
	s_xor_b32 s2, s0, -1
	s_cmp_lg_u32 s14, 1
	s_mov_b32 s0, s12
	s_cselect_b32 s3, -1, 0
	s_lshl_b64 s[4:5], s[0:1], 2
	v_sub_nc_u64_e64 v[2:3], v[2:3], s[0:1]
	v_sub_nc_u64_e64 v[10:11], v[8:9], s[4:5]
	s_mov_b32 s5, s1
	s_mov_b32 s4, s18
	v_sub_nc_u64_e64 v[0:1], v[0:1], s[0:1]
	s_wait_loadcnt 0x0
	v_sub_nc_u64_e64 v[8:9], v[6:7], s[4:5]
	s_delay_alu instid0(VALU_DEP_3)
	v_add_nc_u64_e32 v[6:7], s[8:9], v[10:11]
	s_branch .LBB38_4
.LBB38_3:                               ;   in Loop: Header=BB38_4 Depth=1
	s_wait_xcnt 0x0
	s_or_b32 exec_lo, exec_lo, s4
	v_add_nc_u64_e32 v[0:1], 1, v[0:1]
	v_add_nc_u64_e32 v[6:7], 4, v[6:7]
	s_delay_alu instid0(VALU_DEP_2) | instskip(SKIP_1) | instid1(SALU_CYCLE_1)
	v_cmp_ge_i64_e32 vcc_lo, v[0:1], v[2:3]
	s_or_b32 s1, vcc_lo, s1
	s_and_not1_b32 exec_lo, exec_lo, s1
	s_cbranch_execz .LBB38_17
.LBB38_4:                               ; =>This Inner Loop Header: Depth=1
	global_load_b32 v5, v[6:7], off
	s_and_b32 vcc_lo, exec_lo, s2
	s_mov_b32 s4, -1
                                        ; implicit-def: $sgpr0
	s_wait_loadcnt 0x0
	v_subrev_nc_u32_e32 v5, s12, v5
	s_cbranch_vccz .LBB38_10
; %bb.5:                                ;   in Loop: Header=BB38_4 Depth=1
	s_and_b32 vcc_lo, exec_lo, s3
                                        ; implicit-def: $sgpr0
	s_cbranch_vccz .LBB38_7
; %bb.6:                                ;   in Loop: Header=BB38_4 Depth=1
	s_delay_alu instid0(VALU_DEP_1)
	v_cmp_le_i32_e64 s0, v4, v5
	s_mov_b32 s4, 0
.LBB38_7:                               ;   in Loop: Header=BB38_4 Depth=1
	s_delay_alu instid0(SALU_CYCLE_1)
	s_and_not1_b32 vcc_lo, exec_lo, s4
	s_cbranch_vccnz .LBB38_9
; %bb.8:                                ;   in Loop: Header=BB38_4 Depth=1
	v_cmp_lt_i32_e32 vcc_lo, v4, v5
	s_and_not1_b32 s0, s0, exec_lo
	s_and_b32 s4, vcc_lo, exec_lo
	s_delay_alu instid0(SALU_CYCLE_1)
	s_or_b32 s0, s0, s4
.LBB38_9:                               ;   in Loop: Header=BB38_4 Depth=1
	s_mov_b32 s4, 0
.LBB38_10:                              ;   in Loop: Header=BB38_4 Depth=1
	s_delay_alu instid0(SALU_CYCLE_1)
	s_and_not1_b32 vcc_lo, exec_lo, s4
	s_cbranch_vccnz .LBB38_15
; %bb.11:                               ;   in Loop: Header=BB38_4 Depth=1
	s_and_b32 vcc_lo, exec_lo, s3
	s_mov_b32 s4, -1
                                        ; implicit-def: $sgpr0
	s_cbranch_vccz .LBB38_13
; %bb.12:                               ;   in Loop: Header=BB38_4 Depth=1
	v_cmp_ge_i32_e64 s0, v4, v5
	s_mov_b32 s4, 0
.LBB38_13:                              ;   in Loop: Header=BB38_4 Depth=1
	s_delay_alu instid0(SALU_CYCLE_1)
	s_and_not1_b32 vcc_lo, exec_lo, s4
	s_cbranch_vccnz .LBB38_15
; %bb.14:                               ;   in Loop: Header=BB38_4 Depth=1
	v_cmp_gt_i32_e32 vcc_lo, v4, v5
	s_and_not1_b32 s0, s0, exec_lo
	s_and_b32 s4, vcc_lo, exec_lo
	s_delay_alu instid0(SALU_CYCLE_1)
	s_or_b32 s0, s0, s4
.LBB38_15:                              ;   in Loop: Header=BB38_4 Depth=1
	s_wait_xcnt 0x0
	s_and_saveexec_b32 s4, s0
	s_cbranch_execz .LBB38_3
; %bb.16:                               ;   in Loop: Header=BB38_4 Depth=1
	v_add_nc_u64_e32 v[10:11], s[10:11], v[0:1]
	v_add_nc_u64_e32 v[12:13], s[16:17], v[8:9]
	v_lshl_add_u64 v[14:15], v[8:9], 2, s[6:7]
	v_add_nc_u32_e32 v5, s18, v5
	global_load_u8 v16, v[10:11], off
	s_wait_xcnt 0x0
	v_add_nc_u64_e32 v[10:11], 1, v[8:9]
	global_store_b32 v[14:15], v5, off
	s_wait_loadcnt 0x0
	global_store_b8 v[12:13], v16, off
	v_mov_b64_e32 v[8:9], v[10:11]
	s_branch .LBB38_3
.LBB38_17:
	s_endpgm
	.section	.rodata,"a",@progbits
	.p2align	6, 0x0
	.amdhsa_kernel _ZN9rocsparseL28internal_extract_fill_kernelILj1024EhliEEvT2_PKT1_PKS1_PKT0_21rocsparse_index_base_b20rocsparse_diag_type_S4_PS1_PS7_SA_
		.amdhsa_group_segment_fixed_size 0
		.amdhsa_private_segment_fixed_size 0
		.amdhsa_kernarg_size 336
		.amdhsa_user_sgpr_count 2
		.amdhsa_user_sgpr_dispatch_ptr 0
		.amdhsa_user_sgpr_queue_ptr 0
		.amdhsa_user_sgpr_kernarg_segment_ptr 1
		.amdhsa_user_sgpr_dispatch_id 0
		.amdhsa_user_sgpr_kernarg_preload_length 0
		.amdhsa_user_sgpr_kernarg_preload_offset 0
		.amdhsa_user_sgpr_private_segment_size 0
		.amdhsa_wavefront_size32 1
		.amdhsa_uses_dynamic_stack 0
		.amdhsa_enable_private_segment 0
		.amdhsa_system_sgpr_workgroup_id_x 1
		.amdhsa_system_sgpr_workgroup_id_y 0
		.amdhsa_system_sgpr_workgroup_id_z 0
		.amdhsa_system_sgpr_workgroup_info 0
		.amdhsa_system_vgpr_workitem_id 0
		.amdhsa_next_free_vgpr 17
		.amdhsa_next_free_sgpr 19
		.amdhsa_named_barrier_count 0
		.amdhsa_reserve_vcc 1
		.amdhsa_float_round_mode_32 0
		.amdhsa_float_round_mode_16_64 0
		.amdhsa_float_denorm_mode_32 3
		.amdhsa_float_denorm_mode_16_64 3
		.amdhsa_fp16_overflow 0
		.amdhsa_memory_ordered 1
		.amdhsa_forward_progress 1
		.amdhsa_inst_pref_size 5
		.amdhsa_round_robin_scheduling 0
		.amdhsa_exception_fp_ieee_invalid_op 0
		.amdhsa_exception_fp_denorm_src 0
		.amdhsa_exception_fp_ieee_div_zero 0
		.amdhsa_exception_fp_ieee_overflow 0
		.amdhsa_exception_fp_ieee_underflow 0
		.amdhsa_exception_fp_ieee_inexact 0
		.amdhsa_exception_int_div_zero 0
	.end_amdhsa_kernel
	.section	.text._ZN9rocsparseL28internal_extract_fill_kernelILj1024EhliEEvT2_PKT1_PKS1_PKT0_21rocsparse_index_base_b20rocsparse_diag_type_S4_PS1_PS7_SA_,"axG",@progbits,_ZN9rocsparseL28internal_extract_fill_kernelILj1024EhliEEvT2_PKT1_PKS1_PKT0_21rocsparse_index_base_b20rocsparse_diag_type_S4_PS1_PS7_SA_,comdat
.Lfunc_end38:
	.size	_ZN9rocsparseL28internal_extract_fill_kernelILj1024EhliEEvT2_PKT1_PKS1_PKT0_21rocsparse_index_base_b20rocsparse_diag_type_S4_PS1_PS7_SA_, .Lfunc_end38-_ZN9rocsparseL28internal_extract_fill_kernelILj1024EhliEEvT2_PKT1_PKS1_PKT0_21rocsparse_index_base_b20rocsparse_diag_type_S4_PS1_PS7_SA_
                                        ; -- End function
	.set _ZN9rocsparseL28internal_extract_fill_kernelILj1024EhliEEvT2_PKT1_PKS1_PKT0_21rocsparse_index_base_b20rocsparse_diag_type_S4_PS1_PS7_SA_.num_vgpr, 17
	.set _ZN9rocsparseL28internal_extract_fill_kernelILj1024EhliEEvT2_PKT1_PKS1_PKT0_21rocsparse_index_base_b20rocsparse_diag_type_S4_PS1_PS7_SA_.num_agpr, 0
	.set _ZN9rocsparseL28internal_extract_fill_kernelILj1024EhliEEvT2_PKT1_PKS1_PKT0_21rocsparse_index_base_b20rocsparse_diag_type_S4_PS1_PS7_SA_.numbered_sgpr, 19
	.set _ZN9rocsparseL28internal_extract_fill_kernelILj1024EhliEEvT2_PKT1_PKS1_PKT0_21rocsparse_index_base_b20rocsparse_diag_type_S4_PS1_PS7_SA_.num_named_barrier, 0
	.set _ZN9rocsparseL28internal_extract_fill_kernelILj1024EhliEEvT2_PKT1_PKS1_PKT0_21rocsparse_index_base_b20rocsparse_diag_type_S4_PS1_PS7_SA_.private_seg_size, 0
	.set _ZN9rocsparseL28internal_extract_fill_kernelILj1024EhliEEvT2_PKT1_PKS1_PKT0_21rocsparse_index_base_b20rocsparse_diag_type_S4_PS1_PS7_SA_.uses_vcc, 1
	.set _ZN9rocsparseL28internal_extract_fill_kernelILj1024EhliEEvT2_PKT1_PKS1_PKT0_21rocsparse_index_base_b20rocsparse_diag_type_S4_PS1_PS7_SA_.uses_flat_scratch, 0
	.set _ZN9rocsparseL28internal_extract_fill_kernelILj1024EhliEEvT2_PKT1_PKS1_PKT0_21rocsparse_index_base_b20rocsparse_diag_type_S4_PS1_PS7_SA_.has_dyn_sized_stack, 0
	.set _ZN9rocsparseL28internal_extract_fill_kernelILj1024EhliEEvT2_PKT1_PKS1_PKT0_21rocsparse_index_base_b20rocsparse_diag_type_S4_PS1_PS7_SA_.has_recursion, 0
	.set _ZN9rocsparseL28internal_extract_fill_kernelILj1024EhliEEvT2_PKT1_PKS1_PKT0_21rocsparse_index_base_b20rocsparse_diag_type_S4_PS1_PS7_SA_.has_indirect_call, 0
	.section	.AMDGPU.csdata,"",@progbits
; Kernel info:
; codeLenInByte = 600
; TotalNumSgprs: 21
; NumVgprs: 17
; ScratchSize: 0
; MemoryBound: 0
; FloatMode: 240
; IeeeMode: 1
; LDSByteSize: 0 bytes/workgroup (compile time only)
; SGPRBlocks: 0
; VGPRBlocks: 1
; NumSGPRsForWavesPerEU: 21
; NumVGPRsForWavesPerEU: 17
; NamedBarCnt: 0
; Occupancy: 16
; WaveLimiterHint : 0
; COMPUTE_PGM_RSRC2:SCRATCH_EN: 0
; COMPUTE_PGM_RSRC2:USER_SGPR: 2
; COMPUTE_PGM_RSRC2:TRAP_HANDLER: 0
; COMPUTE_PGM_RSRC2:TGID_X_EN: 1
; COMPUTE_PGM_RSRC2:TGID_Y_EN: 0
; COMPUTE_PGM_RSRC2:TGID_Z_EN: 0
; COMPUTE_PGM_RSRC2:TIDIG_COMP_CNT: 0
	.section	.text._ZN9rocsparseL28internal_extract_fill_kernelILj1024EhllEEvT2_PKT1_PKS1_PKT0_21rocsparse_index_base_b20rocsparse_diag_type_S4_PS1_PS7_SA_,"axG",@progbits,_ZN9rocsparseL28internal_extract_fill_kernelILj1024EhllEEvT2_PKT1_PKS1_PKT0_21rocsparse_index_base_b20rocsparse_diag_type_S4_PS1_PS7_SA_,comdat
	.globl	_ZN9rocsparseL28internal_extract_fill_kernelILj1024EhllEEvT2_PKT1_PKS1_PKT0_21rocsparse_index_base_b20rocsparse_diag_type_S4_PS1_PS7_SA_ ; -- Begin function _ZN9rocsparseL28internal_extract_fill_kernelILj1024EhllEEvT2_PKT1_PKS1_PKT0_21rocsparse_index_base_b20rocsparse_diag_type_S4_PS1_PS7_SA_
	.p2align	8
	.type	_ZN9rocsparseL28internal_extract_fill_kernelILj1024EhllEEvT2_PKT1_PKS1_PKT0_21rocsparse_index_base_b20rocsparse_diag_type_S4_PS1_PS7_SA_,@function
_ZN9rocsparseL28internal_extract_fill_kernelILj1024EhllEEvT2_PKT1_PKS1_PKT0_21rocsparse_index_base_b20rocsparse_diag_type_S4_PS1_PS7_SA_: ; @_ZN9rocsparseL28internal_extract_fill_kernelILj1024EhllEEvT2_PKT1_PKS1_PKT0_21rocsparse_index_base_b20rocsparse_diag_type_S4_PS1_PS7_SA_
; %bb.0:
	s_clause 0x1
	s_load_b32 s4, s[0:1], 0x5c
	s_load_b64 s[2:3], s[0:1], 0x0
	s_bfe_u32 s5, ttmp6, 0x4000c
	s_and_b32 s6, ttmp6, 15
	s_add_co_i32 s5, s5, 1
	s_getreg_b32 s7, hwreg(HW_REG_IB_STS2, 6, 4)
	s_mul_i32 s5, ttmp9, s5
	v_mov_b32_e32 v5, 0
	s_add_co_i32 s6, s6, s5
	s_wait_kmcnt 0x0
	s_and_b32 s4, s4, 0xffff
	s_cmp_eq_u32 s7, 0
	s_cselect_b32 s5, ttmp9, s6
	s_delay_alu instid0(SALU_CYCLE_1) | instskip(NEXT) | instid1(VALU_DEP_1)
	v_mad_u32 v4, s5, s4, v0
	v_cmp_gt_i64_e32 vcc_lo, s[2:3], v[4:5]
	s_and_saveexec_b32 s2, vcc_lo
	s_cbranch_execz .LBB39_17
; %bb.1:
	s_load_b64 s[2:3], s[0:1], 0x8
	s_wait_kmcnt 0x0
	v_lshl_add_u64 v[0:1], v[4:5], 3, s[2:3]
	global_load_b128 v[0:3], v[0:1], off
	s_wait_loadcnt 0x0
	v_cmp_lt_i64_e32 vcc_lo, v[0:1], v[2:3]
	s_and_b32 exec_lo, exec_lo, vcc_lo
	s_cbranch_execz .LBB39_17
; %bb.2:
	s_load_b128 s[4:7], s[0:1], 0x30
	v_lshlrev_b64_e32 v[8:9], 3, v[0:1]
	s_wait_kmcnt 0x0
	v_lshl_add_u64 v[6:7], v[4:5], 3, s[4:5]
	global_load_b64 v[6:7], v[6:7], off
	s_clause 0x2
	s_load_b96 s[16:18], s[0:1], 0x20
	s_load_b96 s[12:14], s[0:1], 0x40
	s_load_b128 s[8:11], s[0:1], 0x10
	s_wait_xcnt 0x0
	s_mov_b32 s1, 0
	s_delay_alu instid0(SALU_CYCLE_1)
	s_mov_b32 s3, s1
	s_wait_kmcnt 0x0
	s_bitcmp1_b32 s17, 0
	s_mov_b32 s2, s16
	s_cselect_b32 s0, -1, 0
	v_sub_nc_u64_e64 v[2:3], v[2:3], s[2:3]
	s_xor_b32 s4, s0, -1
	s_cmp_lg_u32 s18, 1
	s_mov_b32 s0, s14
	s_cselect_b32 s5, -1, 0
	s_lshl_b64 s[16:17], s[2:3], 3
	v_sub_nc_u64_e64 v[0:1], v[0:1], s[2:3]
	v_sub_nc_u64_e64 v[10:11], v[8:9], s[16:17]
	s_wait_loadcnt 0x0
	v_sub_nc_u64_e64 v[8:9], v[6:7], s[0:1]
	s_delay_alu instid0(VALU_DEP_2)
	v_add_nc_u64_e32 v[6:7], s[8:9], v[10:11]
	s_mov_b32 s8, s1
	s_branch .LBB39_4
.LBB39_3:                               ;   in Loop: Header=BB39_4 Depth=1
	s_wait_xcnt 0x0
	s_or_b32 exec_lo, exec_lo, s14
	v_add_nc_u64_e32 v[0:1], 1, v[0:1]
	v_add_nc_u64_e32 v[6:7], 8, v[6:7]
	s_delay_alu instid0(VALU_DEP_2) | instskip(SKIP_1) | instid1(SALU_CYCLE_1)
	v_cmp_ge_i64_e32 vcc_lo, v[0:1], v[2:3]
	s_or_b32 s8, vcc_lo, s8
	s_and_not1_b32 exec_lo, exec_lo, s8
	s_cbranch_execz .LBB39_17
.LBB39_4:                               ; =>This Inner Loop Header: Depth=1
	global_load_b64 v[10:11], v[6:7], off
	s_and_b32 vcc_lo, exec_lo, s4
	s_mov_b32 s14, -1
                                        ; implicit-def: $sgpr9
	s_wait_loadcnt 0x0
	v_sub_nc_u64_e64 v[10:11], v[10:11], s[2:3]
	s_cbranch_vccz .LBB39_10
; %bb.5:                                ;   in Loop: Header=BB39_4 Depth=1
	s_and_b32 vcc_lo, exec_lo, s5
                                        ; implicit-def: $sgpr9
	s_cbranch_vccz .LBB39_7
; %bb.6:                                ;   in Loop: Header=BB39_4 Depth=1
	s_delay_alu instid0(VALU_DEP_1)
	v_cmp_ge_i64_e64 s9, v[10:11], v[4:5]
	s_mov_b32 s14, 0
.LBB39_7:                               ;   in Loop: Header=BB39_4 Depth=1
	s_delay_alu instid0(SALU_CYCLE_1)
	s_and_not1_b32 vcc_lo, exec_lo, s14
	s_cbranch_vccnz .LBB39_9
; %bb.8:                                ;   in Loop: Header=BB39_4 Depth=1
	s_delay_alu instid0(VALU_DEP_1) | instskip(SKIP_2) | instid1(SALU_CYCLE_1)
	v_cmp_gt_i64_e32 vcc_lo, v[10:11], v[4:5]
	s_and_not1_b32 s9, s9, exec_lo
	s_and_b32 s14, vcc_lo, exec_lo
	s_or_b32 s9, s9, s14
.LBB39_9:                               ;   in Loop: Header=BB39_4 Depth=1
	s_mov_b32 s14, 0
.LBB39_10:                              ;   in Loop: Header=BB39_4 Depth=1
	s_delay_alu instid0(SALU_CYCLE_1)
	s_and_not1_b32 vcc_lo, exec_lo, s14
	s_cbranch_vccnz .LBB39_15
; %bb.11:                               ;   in Loop: Header=BB39_4 Depth=1
	s_and_b32 vcc_lo, exec_lo, s5
	s_mov_b32 s14, -1
                                        ; implicit-def: $sgpr9
	s_cbranch_vccz .LBB39_13
; %bb.12:                               ;   in Loop: Header=BB39_4 Depth=1
	v_cmp_le_i64_e64 s9, v[10:11], v[4:5]
	s_mov_b32 s14, 0
.LBB39_13:                              ;   in Loop: Header=BB39_4 Depth=1
	s_delay_alu instid0(SALU_CYCLE_1)
	s_and_not1_b32 vcc_lo, exec_lo, s14
	s_cbranch_vccnz .LBB39_15
; %bb.14:                               ;   in Loop: Header=BB39_4 Depth=1
	v_cmp_lt_i64_e32 vcc_lo, v[10:11], v[4:5]
	s_and_not1_b32 s9, s9, exec_lo
	s_and_b32 s14, vcc_lo, exec_lo
	s_delay_alu instid0(SALU_CYCLE_1)
	s_or_b32 s9, s9, s14
.LBB39_15:                              ;   in Loop: Header=BB39_4 Depth=1
	s_wait_xcnt 0x0
	s_and_saveexec_b32 s14, s9
	s_cbranch_execz .LBB39_3
; %bb.16:                               ;   in Loop: Header=BB39_4 Depth=1
	v_add_nc_u64_e32 v[12:13], s[10:11], v[0:1]
	v_add_nc_u64_e32 v[10:11], s[0:1], v[10:11]
	;; [unrolled: 1-line block ×3, first 2 shown]
	v_lshl_add_u64 v[16:17], v[8:9], 3, s[6:7]
	global_load_u8 v18, v[12:13], off
	s_wait_xcnt 0x0
	v_add_nc_u64_e32 v[12:13], 1, v[8:9]
	global_store_b64 v[16:17], v[10:11], off
	s_wait_loadcnt 0x0
	global_store_b8 v[14:15], v18, off
	v_mov_b64_e32 v[8:9], v[12:13]
	s_branch .LBB39_3
.LBB39_17:
	s_endpgm
	.section	.rodata,"a",@progbits
	.p2align	6, 0x0
	.amdhsa_kernel _ZN9rocsparseL28internal_extract_fill_kernelILj1024EhllEEvT2_PKT1_PKS1_PKT0_21rocsparse_index_base_b20rocsparse_diag_type_S4_PS1_PS7_SA_
		.amdhsa_group_segment_fixed_size 0
		.amdhsa_private_segment_fixed_size 0
		.amdhsa_kernarg_size 336
		.amdhsa_user_sgpr_count 2
		.amdhsa_user_sgpr_dispatch_ptr 0
		.amdhsa_user_sgpr_queue_ptr 0
		.amdhsa_user_sgpr_kernarg_segment_ptr 1
		.amdhsa_user_sgpr_dispatch_id 0
		.amdhsa_user_sgpr_kernarg_preload_length 0
		.amdhsa_user_sgpr_kernarg_preload_offset 0
		.amdhsa_user_sgpr_private_segment_size 0
		.amdhsa_wavefront_size32 1
		.amdhsa_uses_dynamic_stack 0
		.amdhsa_enable_private_segment 0
		.amdhsa_system_sgpr_workgroup_id_x 1
		.amdhsa_system_sgpr_workgroup_id_y 0
		.amdhsa_system_sgpr_workgroup_id_z 0
		.amdhsa_system_sgpr_workgroup_info 0
		.amdhsa_system_vgpr_workitem_id 0
		.amdhsa_next_free_vgpr 19
		.amdhsa_next_free_sgpr 19
		.amdhsa_named_barrier_count 0
		.amdhsa_reserve_vcc 1
		.amdhsa_float_round_mode_32 0
		.amdhsa_float_round_mode_16_64 0
		.amdhsa_float_denorm_mode_32 3
		.amdhsa_float_denorm_mode_16_64 3
		.amdhsa_fp16_overflow 0
		.amdhsa_memory_ordered 1
		.amdhsa_forward_progress 1
		.amdhsa_inst_pref_size 5
		.amdhsa_round_robin_scheduling 0
		.amdhsa_exception_fp_ieee_invalid_op 0
		.amdhsa_exception_fp_denorm_src 0
		.amdhsa_exception_fp_ieee_div_zero 0
		.amdhsa_exception_fp_ieee_overflow 0
		.amdhsa_exception_fp_ieee_underflow 0
		.amdhsa_exception_fp_ieee_inexact 0
		.amdhsa_exception_int_div_zero 0
	.end_amdhsa_kernel
	.section	.text._ZN9rocsparseL28internal_extract_fill_kernelILj1024EhllEEvT2_PKT1_PKS1_PKT0_21rocsparse_index_base_b20rocsparse_diag_type_S4_PS1_PS7_SA_,"axG",@progbits,_ZN9rocsparseL28internal_extract_fill_kernelILj1024EhllEEvT2_PKT1_PKS1_PKT0_21rocsparse_index_base_b20rocsparse_diag_type_S4_PS1_PS7_SA_,comdat
.Lfunc_end39:
	.size	_ZN9rocsparseL28internal_extract_fill_kernelILj1024EhllEEvT2_PKT1_PKS1_PKT0_21rocsparse_index_base_b20rocsparse_diag_type_S4_PS1_PS7_SA_, .Lfunc_end39-_ZN9rocsparseL28internal_extract_fill_kernelILj1024EhllEEvT2_PKT1_PKS1_PKT0_21rocsparse_index_base_b20rocsparse_diag_type_S4_PS1_PS7_SA_
                                        ; -- End function
	.set _ZN9rocsparseL28internal_extract_fill_kernelILj1024EhllEEvT2_PKT1_PKS1_PKT0_21rocsparse_index_base_b20rocsparse_diag_type_S4_PS1_PS7_SA_.num_vgpr, 19
	.set _ZN9rocsparseL28internal_extract_fill_kernelILj1024EhllEEvT2_PKT1_PKS1_PKT0_21rocsparse_index_base_b20rocsparse_diag_type_S4_PS1_PS7_SA_.num_agpr, 0
	.set _ZN9rocsparseL28internal_extract_fill_kernelILj1024EhllEEvT2_PKT1_PKS1_PKT0_21rocsparse_index_base_b20rocsparse_diag_type_S4_PS1_PS7_SA_.numbered_sgpr, 19
	.set _ZN9rocsparseL28internal_extract_fill_kernelILj1024EhllEEvT2_PKT1_PKS1_PKT0_21rocsparse_index_base_b20rocsparse_diag_type_S4_PS1_PS7_SA_.num_named_barrier, 0
	.set _ZN9rocsparseL28internal_extract_fill_kernelILj1024EhllEEvT2_PKT1_PKS1_PKT0_21rocsparse_index_base_b20rocsparse_diag_type_S4_PS1_PS7_SA_.private_seg_size, 0
	.set _ZN9rocsparseL28internal_extract_fill_kernelILj1024EhllEEvT2_PKT1_PKS1_PKT0_21rocsparse_index_base_b20rocsparse_diag_type_S4_PS1_PS7_SA_.uses_vcc, 1
	.set _ZN9rocsparseL28internal_extract_fill_kernelILj1024EhllEEvT2_PKT1_PKS1_PKT0_21rocsparse_index_base_b20rocsparse_diag_type_S4_PS1_PS7_SA_.uses_flat_scratch, 0
	.set _ZN9rocsparseL28internal_extract_fill_kernelILj1024EhllEEvT2_PKT1_PKS1_PKT0_21rocsparse_index_base_b20rocsparse_diag_type_S4_PS1_PS7_SA_.has_dyn_sized_stack, 0
	.set _ZN9rocsparseL28internal_extract_fill_kernelILj1024EhllEEvT2_PKT1_PKS1_PKT0_21rocsparse_index_base_b20rocsparse_diag_type_S4_PS1_PS7_SA_.has_recursion, 0
	.set _ZN9rocsparseL28internal_extract_fill_kernelILj1024EhllEEvT2_PKT1_PKS1_PKT0_21rocsparse_index_base_b20rocsparse_diag_type_S4_PS1_PS7_SA_.has_indirect_call, 0
	.section	.AMDGPU.csdata,"",@progbits
; Kernel info:
; codeLenInByte = 604
; TotalNumSgprs: 21
; NumVgprs: 19
; ScratchSize: 0
; MemoryBound: 0
; FloatMode: 240
; IeeeMode: 1
; LDSByteSize: 0 bytes/workgroup (compile time only)
; SGPRBlocks: 0
; VGPRBlocks: 1
; NumSGPRsForWavesPerEU: 21
; NumVGPRsForWavesPerEU: 19
; NamedBarCnt: 0
; Occupancy: 16
; WaveLimiterHint : 0
; COMPUTE_PGM_RSRC2:SCRATCH_EN: 0
; COMPUTE_PGM_RSRC2:USER_SGPR: 2
; COMPUTE_PGM_RSRC2:TRAP_HANDLER: 0
; COMPUTE_PGM_RSRC2:TGID_X_EN: 1
; COMPUTE_PGM_RSRC2:TGID_Y_EN: 0
; COMPUTE_PGM_RSRC2:TGID_Z_EN: 0
; COMPUTE_PGM_RSRC2:TIDIG_COMP_CNT: 0
	.section	.text._ZN9rocsparseL28internal_extract_fill_kernelILj1024EiiiEEvT2_PKT1_PKS1_PKT0_21rocsparse_index_base_b20rocsparse_diag_type_S4_PS1_PS7_SA_,"axG",@progbits,_ZN9rocsparseL28internal_extract_fill_kernelILj1024EiiiEEvT2_PKT1_PKS1_PKT0_21rocsparse_index_base_b20rocsparse_diag_type_S4_PS1_PS7_SA_,comdat
	.globl	_ZN9rocsparseL28internal_extract_fill_kernelILj1024EiiiEEvT2_PKT1_PKS1_PKT0_21rocsparse_index_base_b20rocsparse_diag_type_S4_PS1_PS7_SA_ ; -- Begin function _ZN9rocsparseL28internal_extract_fill_kernelILj1024EiiiEEvT2_PKT1_PKS1_PKT0_21rocsparse_index_base_b20rocsparse_diag_type_S4_PS1_PS7_SA_
	.p2align	8
	.type	_ZN9rocsparseL28internal_extract_fill_kernelILj1024EiiiEEvT2_PKT1_PKS1_PKT0_21rocsparse_index_base_b20rocsparse_diag_type_S4_PS1_PS7_SA_,@function
_ZN9rocsparseL28internal_extract_fill_kernelILj1024EiiiEEvT2_PKT1_PKS1_PKT0_21rocsparse_index_base_b20rocsparse_diag_type_S4_PS1_PS7_SA_: ; @_ZN9rocsparseL28internal_extract_fill_kernelILj1024EiiiEEvT2_PKT1_PKS1_PKT0_21rocsparse_index_base_b20rocsparse_diag_type_S4_PS1_PS7_SA_
; %bb.0:
	s_clause 0x1
	s_load_b32 s2, s[0:1], 0x5c
	s_load_b32 s3, s[0:1], 0x0
	s_bfe_u32 s4, ttmp6, 0x4000c
	s_and_b32 s5, ttmp6, 15
	s_add_co_i32 s4, s4, 1
	s_getreg_b32 s6, hwreg(HW_REG_IB_STS2, 6, 4)
	s_mul_i32 s4, ttmp9, s4
	s_delay_alu instid0(SALU_CYCLE_1) | instskip(SKIP_4) | instid1(SALU_CYCLE_1)
	s_add_co_i32 s5, s5, s4
	s_wait_kmcnt 0x0
	s_and_b32 s2, s2, 0xffff
	s_cmp_eq_u32 s6, 0
	s_cselect_b32 s4, ttmp9, s5
	v_mad_u32 v0, s4, s2, v0
	s_mov_b32 s2, exec_lo
	s_delay_alu instid0(VALU_DEP_1)
	v_cmpx_gt_i32_e64 s3, v0
	s_cbranch_execz .LBB40_17
; %bb.1:
	s_load_b64 s[2:3], s[0:1], 0x8
	v_ashrrev_i32_e32 v1, 31, v0
	s_wait_kmcnt 0x0
	s_delay_alu instid0(VALU_DEP_1)
	v_lshl_add_u64 v[2:3], v[0:1], 2, s[2:3]
	global_load_b64 v[4:5], v[2:3], off
	s_wait_loadcnt 0x0
	v_cmp_lt_i32_e32 vcc_lo, v4, v5
	s_and_b32 exec_lo, exec_lo, vcc_lo
	s_cbranch_execz .LBB40_17
; %bb.2:
	s_load_b128 s[4:7], s[0:1], 0x30
	s_mov_b32 s2, 0
	s_wait_kmcnt 0x0
	v_lshl_add_u64 v[2:3], v[0:1], 2, s[4:5]
	global_load_b32 v8, v[2:3], off
	s_clause 0x2
	s_load_b96 s[8:10], s[0:1], 0x20
	s_load_b128 s[16:19], s[0:1], 0x10
	s_load_b96 s[12:14], s[0:1], 0x40
	s_wait_kmcnt 0x0
	v_subrev_nc_u32_e32 v2, s8, v4
	s_bitcmp1_b32 s9, 0
	v_subrev_nc_u32_e32 v1, s8, v5
	s_cselect_b32 s0, -1, 0
	s_delay_alu instid0(VALU_DEP_2) | instskip(SKIP_3) | instid1(VALU_DEP_1)
	v_ashrrev_i32_e32 v3, 31, v2
	s_xor_b32 s0, s0, -1
	s_cmp_lg_u32 s10, 1
	s_cselect_b32 s1, -1, 0
	v_lshlrev_b64_e32 v[6:7], 2, v[2:3]
	s_delay_alu instid0(VALU_DEP_1)
	v_add_nc_u64_e32 v[4:5], s[16:17], v[6:7]
	v_add_nc_u64_e32 v[6:7], s[18:19], v[6:7]
	s_wait_loadcnt 0x0
	v_subrev_nc_u32_e32 v3, s14, v8
	s_branch .LBB40_4
.LBB40_3:                               ;   in Loop: Header=BB40_4 Depth=1
	s_or_b32 exec_lo, exec_lo, s4
	v_add_nc_u32_e32 v2, 1, v2
	v_add_nc_u64_e32 v[4:5], 4, v[4:5]
	v_add_nc_u64_e32 v[6:7], 4, v[6:7]
	s_delay_alu instid0(VALU_DEP_3) | instskip(SKIP_1) | instid1(SALU_CYCLE_1)
	v_cmp_ge_i32_e32 vcc_lo, v2, v1
	s_or_b32 s2, vcc_lo, s2
	s_and_not1_b32 exec_lo, exec_lo, s2
	s_cbranch_execz .LBB40_17
.LBB40_4:                               ; =>This Inner Loop Header: Depth=1
	global_load_b32 v8, v[4:5], off
	s_and_b32 vcc_lo, exec_lo, s0
	s_mov_b32 s4, -1
                                        ; implicit-def: $sgpr3
	s_wait_loadcnt 0x0
	v_subrev_nc_u32_e32 v8, s8, v8
	s_cbranch_vccz .LBB40_10
; %bb.5:                                ;   in Loop: Header=BB40_4 Depth=1
	s_and_b32 vcc_lo, exec_lo, s1
                                        ; implicit-def: $sgpr3
	s_cbranch_vccz .LBB40_7
; %bb.6:                                ;   in Loop: Header=BB40_4 Depth=1
	s_delay_alu instid0(VALU_DEP_1)
	v_cmp_le_i32_e64 s3, v0, v8
	s_mov_b32 s4, 0
.LBB40_7:                               ;   in Loop: Header=BB40_4 Depth=1
	s_delay_alu instid0(SALU_CYCLE_1)
	s_and_not1_b32 vcc_lo, exec_lo, s4
	s_cbranch_vccnz .LBB40_9
; %bb.8:                                ;   in Loop: Header=BB40_4 Depth=1
	v_cmp_lt_i32_e32 vcc_lo, v0, v8
	s_and_not1_b32 s3, s3, exec_lo
	s_and_b32 s4, vcc_lo, exec_lo
	s_delay_alu instid0(SALU_CYCLE_1)
	s_or_b32 s3, s3, s4
.LBB40_9:                               ;   in Loop: Header=BB40_4 Depth=1
	s_mov_b32 s4, 0
.LBB40_10:                              ;   in Loop: Header=BB40_4 Depth=1
	s_delay_alu instid0(SALU_CYCLE_1)
	s_and_not1_b32 vcc_lo, exec_lo, s4
	s_cbranch_vccnz .LBB40_15
; %bb.11:                               ;   in Loop: Header=BB40_4 Depth=1
	s_and_b32 vcc_lo, exec_lo, s1
	s_mov_b32 s4, -1
                                        ; implicit-def: $sgpr3
	s_cbranch_vccz .LBB40_13
; %bb.12:                               ;   in Loop: Header=BB40_4 Depth=1
	v_cmp_ge_i32_e64 s3, v0, v8
	s_mov_b32 s4, 0
.LBB40_13:                              ;   in Loop: Header=BB40_4 Depth=1
	s_delay_alu instid0(SALU_CYCLE_1)
	s_and_not1_b32 vcc_lo, exec_lo, s4
	s_cbranch_vccnz .LBB40_15
; %bb.14:                               ;   in Loop: Header=BB40_4 Depth=1
	v_cmp_gt_i32_e32 vcc_lo, v0, v8
	s_and_not1_b32 s3, s3, exec_lo
	s_and_b32 s4, vcc_lo, exec_lo
	s_delay_alu instid0(SALU_CYCLE_1)
	s_or_b32 s3, s3, s4
.LBB40_15:                              ;   in Loop: Header=BB40_4 Depth=1
	s_wait_xcnt 0x0
	s_and_saveexec_b32 s4, s3
	s_cbranch_execz .LBB40_3
; %bb.16:                               ;   in Loop: Header=BB40_4 Depth=1
	global_load_b32 v9, v[6:7], off
	v_dual_add_nc_u32 v8, s14, v8 :: v_dual_add_nc_u32 v10, 1, v3
	global_store_b32 v3, v8, s[6:7] scale_offset
	s_wait_loadcnt 0x0
	global_store_b32 v3, v9, s[12:13] scale_offset
	s_wait_xcnt 0x0
	v_mov_b32_e32 v3, v10
	s_branch .LBB40_3
.LBB40_17:
	s_endpgm
	.section	.rodata,"a",@progbits
	.p2align	6, 0x0
	.amdhsa_kernel _ZN9rocsparseL28internal_extract_fill_kernelILj1024EiiiEEvT2_PKT1_PKS1_PKT0_21rocsparse_index_base_b20rocsparse_diag_type_S4_PS1_PS7_SA_
		.amdhsa_group_segment_fixed_size 0
		.amdhsa_private_segment_fixed_size 0
		.amdhsa_kernarg_size 336
		.amdhsa_user_sgpr_count 2
		.amdhsa_user_sgpr_dispatch_ptr 0
		.amdhsa_user_sgpr_queue_ptr 0
		.amdhsa_user_sgpr_kernarg_segment_ptr 1
		.amdhsa_user_sgpr_dispatch_id 0
		.amdhsa_user_sgpr_kernarg_preload_length 0
		.amdhsa_user_sgpr_kernarg_preload_offset 0
		.amdhsa_user_sgpr_private_segment_size 0
		.amdhsa_wavefront_size32 1
		.amdhsa_uses_dynamic_stack 0
		.amdhsa_enable_private_segment 0
		.amdhsa_system_sgpr_workgroup_id_x 1
		.amdhsa_system_sgpr_workgroup_id_y 0
		.amdhsa_system_sgpr_workgroup_id_z 0
		.amdhsa_system_sgpr_workgroup_info 0
		.amdhsa_system_vgpr_workitem_id 0
		.amdhsa_next_free_vgpr 11
		.amdhsa_next_free_sgpr 20
		.amdhsa_named_barrier_count 0
		.amdhsa_reserve_vcc 1
		.amdhsa_float_round_mode_32 0
		.amdhsa_float_round_mode_16_64 0
		.amdhsa_float_denorm_mode_32 3
		.amdhsa_float_denorm_mode_16_64 3
		.amdhsa_fp16_overflow 0
		.amdhsa_memory_ordered 1
		.amdhsa_forward_progress 1
		.amdhsa_inst_pref_size 5
		.amdhsa_round_robin_scheduling 0
		.amdhsa_exception_fp_ieee_invalid_op 0
		.amdhsa_exception_fp_denorm_src 0
		.amdhsa_exception_fp_ieee_div_zero 0
		.amdhsa_exception_fp_ieee_overflow 0
		.amdhsa_exception_fp_ieee_underflow 0
		.amdhsa_exception_fp_ieee_inexact 0
		.amdhsa_exception_int_div_zero 0
	.end_amdhsa_kernel
	.section	.text._ZN9rocsparseL28internal_extract_fill_kernelILj1024EiiiEEvT2_PKT1_PKS1_PKT0_21rocsparse_index_base_b20rocsparse_diag_type_S4_PS1_PS7_SA_,"axG",@progbits,_ZN9rocsparseL28internal_extract_fill_kernelILj1024EiiiEEvT2_PKT1_PKS1_PKT0_21rocsparse_index_base_b20rocsparse_diag_type_S4_PS1_PS7_SA_,comdat
.Lfunc_end40:
	.size	_ZN9rocsparseL28internal_extract_fill_kernelILj1024EiiiEEvT2_PKT1_PKS1_PKT0_21rocsparse_index_base_b20rocsparse_diag_type_S4_PS1_PS7_SA_, .Lfunc_end40-_ZN9rocsparseL28internal_extract_fill_kernelILj1024EiiiEEvT2_PKT1_PKS1_PKT0_21rocsparse_index_base_b20rocsparse_diag_type_S4_PS1_PS7_SA_
                                        ; -- End function
	.set _ZN9rocsparseL28internal_extract_fill_kernelILj1024EiiiEEvT2_PKT1_PKS1_PKT0_21rocsparse_index_base_b20rocsparse_diag_type_S4_PS1_PS7_SA_.num_vgpr, 11
	.set _ZN9rocsparseL28internal_extract_fill_kernelILj1024EiiiEEvT2_PKT1_PKS1_PKT0_21rocsparse_index_base_b20rocsparse_diag_type_S4_PS1_PS7_SA_.num_agpr, 0
	.set _ZN9rocsparseL28internal_extract_fill_kernelILj1024EiiiEEvT2_PKT1_PKS1_PKT0_21rocsparse_index_base_b20rocsparse_diag_type_S4_PS1_PS7_SA_.numbered_sgpr, 20
	.set _ZN9rocsparseL28internal_extract_fill_kernelILj1024EiiiEEvT2_PKT1_PKS1_PKT0_21rocsparse_index_base_b20rocsparse_diag_type_S4_PS1_PS7_SA_.num_named_barrier, 0
	.set _ZN9rocsparseL28internal_extract_fill_kernelILj1024EiiiEEvT2_PKT1_PKS1_PKT0_21rocsparse_index_base_b20rocsparse_diag_type_S4_PS1_PS7_SA_.private_seg_size, 0
	.set _ZN9rocsparseL28internal_extract_fill_kernelILj1024EiiiEEvT2_PKT1_PKS1_PKT0_21rocsparse_index_base_b20rocsparse_diag_type_S4_PS1_PS7_SA_.uses_vcc, 1
	.set _ZN9rocsparseL28internal_extract_fill_kernelILj1024EiiiEEvT2_PKT1_PKS1_PKT0_21rocsparse_index_base_b20rocsparse_diag_type_S4_PS1_PS7_SA_.uses_flat_scratch, 0
	.set _ZN9rocsparseL28internal_extract_fill_kernelILj1024EiiiEEvT2_PKT1_PKS1_PKT0_21rocsparse_index_base_b20rocsparse_diag_type_S4_PS1_PS7_SA_.has_dyn_sized_stack, 0
	.set _ZN9rocsparseL28internal_extract_fill_kernelILj1024EiiiEEvT2_PKT1_PKS1_PKT0_21rocsparse_index_base_b20rocsparse_diag_type_S4_PS1_PS7_SA_.has_recursion, 0
	.set _ZN9rocsparseL28internal_extract_fill_kernelILj1024EiiiEEvT2_PKT1_PKS1_PKT0_21rocsparse_index_base_b20rocsparse_diag_type_S4_PS1_PS7_SA_.has_indirect_call, 0
	.section	.AMDGPU.csdata,"",@progbits
; Kernel info:
; codeLenInByte = 564
; TotalNumSgprs: 22
; NumVgprs: 11
; ScratchSize: 0
; MemoryBound: 0
; FloatMode: 240
; IeeeMode: 1
; LDSByteSize: 0 bytes/workgroup (compile time only)
; SGPRBlocks: 0
; VGPRBlocks: 0
; NumSGPRsForWavesPerEU: 22
; NumVGPRsForWavesPerEU: 11
; NamedBarCnt: 0
; Occupancy: 16
; WaveLimiterHint : 0
; COMPUTE_PGM_RSRC2:SCRATCH_EN: 0
; COMPUTE_PGM_RSRC2:USER_SGPR: 2
; COMPUTE_PGM_RSRC2:TRAP_HANDLER: 0
; COMPUTE_PGM_RSRC2:TGID_X_EN: 1
; COMPUTE_PGM_RSRC2:TGID_Y_EN: 0
; COMPUTE_PGM_RSRC2:TGID_Z_EN: 0
; COMPUTE_PGM_RSRC2:TIDIG_COMP_CNT: 0
	.section	.text._ZN9rocsparseL28internal_extract_fill_kernelILj1024EiilEEvT2_PKT1_PKS1_PKT0_21rocsparse_index_base_b20rocsparse_diag_type_S4_PS1_PS7_SA_,"axG",@progbits,_ZN9rocsparseL28internal_extract_fill_kernelILj1024EiilEEvT2_PKT1_PKS1_PKT0_21rocsparse_index_base_b20rocsparse_diag_type_S4_PS1_PS7_SA_,comdat
	.globl	_ZN9rocsparseL28internal_extract_fill_kernelILj1024EiilEEvT2_PKT1_PKS1_PKT0_21rocsparse_index_base_b20rocsparse_diag_type_S4_PS1_PS7_SA_ ; -- Begin function _ZN9rocsparseL28internal_extract_fill_kernelILj1024EiilEEvT2_PKT1_PKS1_PKT0_21rocsparse_index_base_b20rocsparse_diag_type_S4_PS1_PS7_SA_
	.p2align	8
	.type	_ZN9rocsparseL28internal_extract_fill_kernelILj1024EiilEEvT2_PKT1_PKS1_PKT0_21rocsparse_index_base_b20rocsparse_diag_type_S4_PS1_PS7_SA_,@function
_ZN9rocsparseL28internal_extract_fill_kernelILj1024EiilEEvT2_PKT1_PKS1_PKT0_21rocsparse_index_base_b20rocsparse_diag_type_S4_PS1_PS7_SA_: ; @_ZN9rocsparseL28internal_extract_fill_kernelILj1024EiilEEvT2_PKT1_PKS1_PKT0_21rocsparse_index_base_b20rocsparse_diag_type_S4_PS1_PS7_SA_
; %bb.0:
	s_clause 0x1
	s_load_b32 s4, s[0:1], 0x5c
	s_load_b64 s[2:3], s[0:1], 0x0
	s_bfe_u32 s5, ttmp6, 0x4000c
	s_and_b32 s6, ttmp6, 15
	s_add_co_i32 s5, s5, 1
	s_getreg_b32 s7, hwreg(HW_REG_IB_STS2, 6, 4)
	s_mul_i32 s5, ttmp9, s5
	s_delay_alu instid0(SALU_CYCLE_1) | instskip(SKIP_4) | instid1(SALU_CYCLE_1)
	s_add_co_i32 s6, s6, s5
	s_wait_kmcnt 0x0
	s_and_b32 s4, s4, 0xffff
	s_cmp_eq_u32 s7, 0
	s_cselect_b32 s5, ttmp9, s6
	v_mad_u32 v0, s5, s4, v0
	s_delay_alu instid0(VALU_DEP_1) | instskip(NEXT) | instid1(VALU_DEP_1)
	v_ashrrev_i32_e32 v1, 31, v0
	v_cmp_gt_i64_e32 vcc_lo, s[2:3], v[0:1]
	s_and_saveexec_b32 s2, vcc_lo
	s_cbranch_execz .LBB41_17
; %bb.1:
	s_load_b64 s[2:3], s[0:1], 0x8
	s_wait_kmcnt 0x0
	v_lshl_add_u64 v[2:3], v[0:1], 2, s[2:3]
	global_load_b64 v[2:3], v[2:3], off
	s_wait_loadcnt 0x0
	v_cmp_lt_i32_e32 vcc_lo, v2, v3
	s_and_b32 exec_lo, exec_lo, vcc_lo
	s_cbranch_execz .LBB41_17
; %bb.2:
	s_load_b128 s[4:7], s[0:1], 0x30
	s_wait_kmcnt 0x0
	v_lshl_add_u64 v[4:5], v[0:1], 2, s[4:5]
	global_load_b32 v6, v[4:5], off
	s_clause 0x2
	s_load_b96 s[8:10], s[0:1], 0x20
	s_load_b96 s[12:14], s[0:1], 0x40
	s_load_b128 s[16:19], s[0:1], 0x10
	s_wait_xcnt 0x0
	s_mov_b32 s1, 0
	s_delay_alu instid0(SALU_CYCLE_1)
	s_mov_b32 s4, s1
	s_wait_kmcnt 0x0
	v_subrev_nc_u32_e32 v2, s8, v2
	v_subrev_nc_u32_e32 v10, s8, v3
	s_bitcmp1_b32 s9, 0
	s_mov_b32 s0, s14
	s_cselect_b32 s2, -1, 0
	v_ashrrev_i32_e32 v3, 31, v2
	s_xor_b32 s2, s2, -1
	s_cmp_lg_u32 s10, 1
	s_mov_b32 s9, s1
	s_cselect_b32 s3, -1, 0
	v_lshl_add_u64 v[4:5], v[2:3], 3, s[16:17]
	s_wait_loadcnt 0x0
	v_subrev_nc_u32_e32 v11, s14, v6
	v_lshl_add_u64 v[6:7], v[2:3], 2, s[18:19]
	s_branch .LBB41_4
.LBB41_3:                               ;   in Loop: Header=BB41_4 Depth=1
	s_or_b32 exec_lo, exec_lo, s10
	v_add_nc_u32_e32 v2, 1, v2
	v_add_nc_u64_e32 v[4:5], 8, v[4:5]
	v_add_nc_u64_e32 v[6:7], 4, v[6:7]
	s_delay_alu instid0(VALU_DEP_3) | instskip(SKIP_1) | instid1(SALU_CYCLE_1)
	v_cmp_ge_i32_e32 vcc_lo, v2, v10
	s_or_b32 s4, vcc_lo, s4
	s_and_not1_b32 exec_lo, exec_lo, s4
	s_cbranch_execz .LBB41_17
.LBB41_4:                               ; =>This Inner Loop Header: Depth=1
	global_load_b64 v[8:9], v[4:5], off
	s_and_b32 vcc_lo, exec_lo, s2
	s_mov_b32 s10, -1
                                        ; implicit-def: $sgpr5
	s_wait_loadcnt 0x0
	v_sub_nc_u64_e64 v[8:9], v[8:9], s[8:9]
	s_cbranch_vccz .LBB41_10
; %bb.5:                                ;   in Loop: Header=BB41_4 Depth=1
	s_and_b32 vcc_lo, exec_lo, s3
                                        ; implicit-def: $sgpr5
	s_cbranch_vccz .LBB41_7
; %bb.6:                                ;   in Loop: Header=BB41_4 Depth=1
	s_delay_alu instid0(VALU_DEP_1)
	v_cmp_ge_i64_e64 s5, v[8:9], v[0:1]
	s_mov_b32 s10, 0
.LBB41_7:                               ;   in Loop: Header=BB41_4 Depth=1
	s_delay_alu instid0(SALU_CYCLE_1)
	s_and_not1_b32 vcc_lo, exec_lo, s10
	s_cbranch_vccnz .LBB41_9
; %bb.8:                                ;   in Loop: Header=BB41_4 Depth=1
	s_delay_alu instid0(VALU_DEP_1) | instskip(SKIP_2) | instid1(SALU_CYCLE_1)
	v_cmp_gt_i64_e32 vcc_lo, v[8:9], v[0:1]
	s_and_not1_b32 s5, s5, exec_lo
	s_and_b32 s10, vcc_lo, exec_lo
	s_or_b32 s5, s5, s10
.LBB41_9:                               ;   in Loop: Header=BB41_4 Depth=1
	s_mov_b32 s10, 0
.LBB41_10:                              ;   in Loop: Header=BB41_4 Depth=1
	s_delay_alu instid0(SALU_CYCLE_1)
	s_and_not1_b32 vcc_lo, exec_lo, s10
	s_cbranch_vccnz .LBB41_15
; %bb.11:                               ;   in Loop: Header=BB41_4 Depth=1
	s_and_b32 vcc_lo, exec_lo, s3
	s_mov_b32 s10, -1
                                        ; implicit-def: $sgpr5
	s_cbranch_vccz .LBB41_13
; %bb.12:                               ;   in Loop: Header=BB41_4 Depth=1
	v_cmp_le_i64_e64 s5, v[8:9], v[0:1]
	s_mov_b32 s10, 0
.LBB41_13:                              ;   in Loop: Header=BB41_4 Depth=1
	s_delay_alu instid0(SALU_CYCLE_1)
	s_and_not1_b32 vcc_lo, exec_lo, s10
	s_cbranch_vccnz .LBB41_15
; %bb.14:                               ;   in Loop: Header=BB41_4 Depth=1
	v_cmp_lt_i64_e32 vcc_lo, v[8:9], v[0:1]
	s_and_not1_b32 s5, s5, exec_lo
	s_and_b32 s10, vcc_lo, exec_lo
	s_delay_alu instid0(SALU_CYCLE_1)
	s_or_b32 s5, s5, s10
.LBB41_15:                              ;   in Loop: Header=BB41_4 Depth=1
	s_wait_xcnt 0x0
	s_and_saveexec_b32 s10, s5
	s_cbranch_execz .LBB41_3
; %bb.16:                               ;   in Loop: Header=BB41_4 Depth=1
	global_load_b32 v3, v[6:7], off
	v_add_nc_u64_e32 v[8:9], s[0:1], v[8:9]
	v_add_nc_u32_e32 v12, 1, v11
	global_store_b64 v11, v[8:9], s[6:7] scale_offset
	s_wait_loadcnt 0x0
	global_store_b32 v11, v3, s[12:13] scale_offset
	s_wait_xcnt 0x0
	v_mov_b32_e32 v11, v12
	s_branch .LBB41_3
.LBB41_17:
	s_endpgm
	.section	.rodata,"a",@progbits
	.p2align	6, 0x0
	.amdhsa_kernel _ZN9rocsparseL28internal_extract_fill_kernelILj1024EiilEEvT2_PKT1_PKS1_PKT0_21rocsparse_index_base_b20rocsparse_diag_type_S4_PS1_PS7_SA_
		.amdhsa_group_segment_fixed_size 0
		.amdhsa_private_segment_fixed_size 0
		.amdhsa_kernarg_size 336
		.amdhsa_user_sgpr_count 2
		.amdhsa_user_sgpr_dispatch_ptr 0
		.amdhsa_user_sgpr_queue_ptr 0
		.amdhsa_user_sgpr_kernarg_segment_ptr 1
		.amdhsa_user_sgpr_dispatch_id 0
		.amdhsa_user_sgpr_kernarg_preload_length 0
		.amdhsa_user_sgpr_kernarg_preload_offset 0
		.amdhsa_user_sgpr_private_segment_size 0
		.amdhsa_wavefront_size32 1
		.amdhsa_uses_dynamic_stack 0
		.amdhsa_enable_private_segment 0
		.amdhsa_system_sgpr_workgroup_id_x 1
		.amdhsa_system_sgpr_workgroup_id_y 0
		.amdhsa_system_sgpr_workgroup_id_z 0
		.amdhsa_system_sgpr_workgroup_info 0
		.amdhsa_system_vgpr_workitem_id 0
		.amdhsa_next_free_vgpr 13
		.amdhsa_next_free_sgpr 20
		.amdhsa_named_barrier_count 0
		.amdhsa_reserve_vcc 1
		.amdhsa_float_round_mode_32 0
		.amdhsa_float_round_mode_16_64 0
		.amdhsa_float_denorm_mode_32 3
		.amdhsa_float_denorm_mode_16_64 3
		.amdhsa_fp16_overflow 0
		.amdhsa_memory_ordered 1
		.amdhsa_forward_progress 1
		.amdhsa_inst_pref_size 5
		.amdhsa_round_robin_scheduling 0
		.amdhsa_exception_fp_ieee_invalid_op 0
		.amdhsa_exception_fp_denorm_src 0
		.amdhsa_exception_fp_ieee_div_zero 0
		.amdhsa_exception_fp_ieee_overflow 0
		.amdhsa_exception_fp_ieee_underflow 0
		.amdhsa_exception_fp_ieee_inexact 0
		.amdhsa_exception_int_div_zero 0
	.end_amdhsa_kernel
	.section	.text._ZN9rocsparseL28internal_extract_fill_kernelILj1024EiilEEvT2_PKT1_PKS1_PKT0_21rocsparse_index_base_b20rocsparse_diag_type_S4_PS1_PS7_SA_,"axG",@progbits,_ZN9rocsparseL28internal_extract_fill_kernelILj1024EiilEEvT2_PKT1_PKS1_PKT0_21rocsparse_index_base_b20rocsparse_diag_type_S4_PS1_PS7_SA_,comdat
.Lfunc_end41:
	.size	_ZN9rocsparseL28internal_extract_fill_kernelILj1024EiilEEvT2_PKT1_PKS1_PKT0_21rocsparse_index_base_b20rocsparse_diag_type_S4_PS1_PS7_SA_, .Lfunc_end41-_ZN9rocsparseL28internal_extract_fill_kernelILj1024EiilEEvT2_PKT1_PKS1_PKT0_21rocsparse_index_base_b20rocsparse_diag_type_S4_PS1_PS7_SA_
                                        ; -- End function
	.set _ZN9rocsparseL28internal_extract_fill_kernelILj1024EiilEEvT2_PKT1_PKS1_PKT0_21rocsparse_index_base_b20rocsparse_diag_type_S4_PS1_PS7_SA_.num_vgpr, 13
	.set _ZN9rocsparseL28internal_extract_fill_kernelILj1024EiilEEvT2_PKT1_PKS1_PKT0_21rocsparse_index_base_b20rocsparse_diag_type_S4_PS1_PS7_SA_.num_agpr, 0
	.set _ZN9rocsparseL28internal_extract_fill_kernelILj1024EiilEEvT2_PKT1_PKS1_PKT0_21rocsparse_index_base_b20rocsparse_diag_type_S4_PS1_PS7_SA_.numbered_sgpr, 20
	.set _ZN9rocsparseL28internal_extract_fill_kernelILj1024EiilEEvT2_PKT1_PKS1_PKT0_21rocsparse_index_base_b20rocsparse_diag_type_S4_PS1_PS7_SA_.num_named_barrier, 0
	.set _ZN9rocsparseL28internal_extract_fill_kernelILj1024EiilEEvT2_PKT1_PKS1_PKT0_21rocsparse_index_base_b20rocsparse_diag_type_S4_PS1_PS7_SA_.private_seg_size, 0
	.set _ZN9rocsparseL28internal_extract_fill_kernelILj1024EiilEEvT2_PKT1_PKS1_PKT0_21rocsparse_index_base_b20rocsparse_diag_type_S4_PS1_PS7_SA_.uses_vcc, 1
	.set _ZN9rocsparseL28internal_extract_fill_kernelILj1024EiilEEvT2_PKT1_PKS1_PKT0_21rocsparse_index_base_b20rocsparse_diag_type_S4_PS1_PS7_SA_.uses_flat_scratch, 0
	.set _ZN9rocsparseL28internal_extract_fill_kernelILj1024EiilEEvT2_PKT1_PKS1_PKT0_21rocsparse_index_base_b20rocsparse_diag_type_S4_PS1_PS7_SA_.has_dyn_sized_stack, 0
	.set _ZN9rocsparseL28internal_extract_fill_kernelILj1024EiilEEvT2_PKT1_PKS1_PKT0_21rocsparse_index_base_b20rocsparse_diag_type_S4_PS1_PS7_SA_.has_recursion, 0
	.set _ZN9rocsparseL28internal_extract_fill_kernelILj1024EiilEEvT2_PKT1_PKS1_PKT0_21rocsparse_index_base_b20rocsparse_diag_type_S4_PS1_PS7_SA_.has_indirect_call, 0
	.section	.AMDGPU.csdata,"",@progbits
; Kernel info:
; codeLenInByte = 572
; TotalNumSgprs: 22
; NumVgprs: 13
; ScratchSize: 0
; MemoryBound: 0
; FloatMode: 240
; IeeeMode: 1
; LDSByteSize: 0 bytes/workgroup (compile time only)
; SGPRBlocks: 0
; VGPRBlocks: 0
; NumSGPRsForWavesPerEU: 22
; NumVGPRsForWavesPerEU: 13
; NamedBarCnt: 0
; Occupancy: 16
; WaveLimiterHint : 0
; COMPUTE_PGM_RSRC2:SCRATCH_EN: 0
; COMPUTE_PGM_RSRC2:USER_SGPR: 2
; COMPUTE_PGM_RSRC2:TRAP_HANDLER: 0
; COMPUTE_PGM_RSRC2:TGID_X_EN: 1
; COMPUTE_PGM_RSRC2:TGID_Y_EN: 0
; COMPUTE_PGM_RSRC2:TGID_Z_EN: 0
; COMPUTE_PGM_RSRC2:TIDIG_COMP_CNT: 0
	.section	.text._ZN9rocsparseL28internal_extract_fill_kernelILj1024EiliEEvT2_PKT1_PKS1_PKT0_21rocsparse_index_base_b20rocsparse_diag_type_S4_PS1_PS7_SA_,"axG",@progbits,_ZN9rocsparseL28internal_extract_fill_kernelILj1024EiliEEvT2_PKT1_PKS1_PKT0_21rocsparse_index_base_b20rocsparse_diag_type_S4_PS1_PS7_SA_,comdat
	.globl	_ZN9rocsparseL28internal_extract_fill_kernelILj1024EiliEEvT2_PKT1_PKS1_PKT0_21rocsparse_index_base_b20rocsparse_diag_type_S4_PS1_PS7_SA_ ; -- Begin function _ZN9rocsparseL28internal_extract_fill_kernelILj1024EiliEEvT2_PKT1_PKS1_PKT0_21rocsparse_index_base_b20rocsparse_diag_type_S4_PS1_PS7_SA_
	.p2align	8
	.type	_ZN9rocsparseL28internal_extract_fill_kernelILj1024EiliEEvT2_PKT1_PKS1_PKT0_21rocsparse_index_base_b20rocsparse_diag_type_S4_PS1_PS7_SA_,@function
_ZN9rocsparseL28internal_extract_fill_kernelILj1024EiliEEvT2_PKT1_PKS1_PKT0_21rocsparse_index_base_b20rocsparse_diag_type_S4_PS1_PS7_SA_: ; @_ZN9rocsparseL28internal_extract_fill_kernelILj1024EiliEEvT2_PKT1_PKS1_PKT0_21rocsparse_index_base_b20rocsparse_diag_type_S4_PS1_PS7_SA_
; %bb.0:
	s_clause 0x1
	s_load_b32 s2, s[0:1], 0x0
	s_load_b32 s4, s[0:1], 0x5c
	s_bfe_u32 s3, ttmp6, 0x4000c
	s_and_b32 s5, ttmp6, 15
	s_add_co_i32 s3, s3, 1
	s_getreg_b32 s6, hwreg(HW_REG_IB_STS2, 6, 4)
	s_mul_i32 s7, ttmp9, s3
	v_mov_b32_e32 v5, 0
	s_add_co_i32 s5, s5, s7
	s_wait_kmcnt 0x0
	s_ashr_i32 s3, s2, 31
	s_and_b32 s4, s4, 0xffff
	s_cmp_eq_u32 s6, 0
	s_cselect_b32 s5, ttmp9, s5
	s_delay_alu instid0(SALU_CYCLE_1) | instskip(NEXT) | instid1(VALU_DEP_1)
	v_mad_u32 v4, s5, s4, v0
	v_cmp_gt_i64_e32 vcc_lo, s[2:3], v[4:5]
	s_and_saveexec_b32 s2, vcc_lo
	s_cbranch_execz .LBB42_17
; %bb.1:
	s_load_b64 s[2:3], s[0:1], 0x8
	s_wait_kmcnt 0x0
	v_lshl_add_u64 v[0:1], v[4:5], 3, s[2:3]
	global_load_b128 v[0:3], v[0:1], off
	s_wait_loadcnt 0x0
	v_cmp_lt_i64_e32 vcc_lo, v[0:1], v[2:3]
	s_and_b32 exec_lo, exec_lo, vcc_lo
	s_cbranch_execz .LBB42_17
; %bb.2:
	s_load_b128 s[4:7], s[0:1], 0x30
	s_wait_kmcnt 0x0
	v_lshl_add_u64 v[6:7], v[4:5], 3, s[4:5]
	global_load_b64 v[8:9], v[6:7], off
	s_clause 0x2
	s_load_b96 s[8:10], s[0:1], 0x20
	s_load_b96 s[12:14], s[0:1], 0x40
	s_load_b128 s[16:19], s[0:1], 0x10
	v_lshlrev_b64_e32 v[6:7], 2, v[0:1]
	s_wait_xcnt 0x0
	s_mov_b32 s1, 0
	s_wait_kmcnt 0x0
	s_bitcmp1_b32 s9, 0
	s_cselect_b32 s0, -1, 0
	s_delay_alu instid0(SALU_CYCLE_1)
	s_xor_b32 s2, s0, -1
	s_cmp_lg_u32 s10, 1
	s_mov_b32 s0, s8
	s_cselect_b32 s3, -1, 0
	s_lshl_b64 s[4:5], s[0:1], 2
	v_sub_nc_u64_e64 v[2:3], v[2:3], s[0:1]
	v_sub_nc_u64_e64 v[12:13], v[6:7], s[4:5]
	s_mov_b32 s5, s1
	s_mov_b32 s4, s14
	v_sub_nc_u64_e64 v[0:1], v[0:1], s[0:1]
	s_delay_alu instid0(VALU_DEP_2)
	v_add_nc_u64_e32 v[6:7], s[18:19], v[12:13]
	s_wait_loadcnt 0x0
	v_sub_nc_u64_e64 v[10:11], v[8:9], s[4:5]
	v_add_nc_u64_e32 v[8:9], s[16:17], v[12:13]
	s_branch .LBB42_4
.LBB42_3:                               ;   in Loop: Header=BB42_4 Depth=1
	s_wait_xcnt 0x0
	s_or_b32 exec_lo, exec_lo, s4
	v_add_nc_u64_e32 v[0:1], 1, v[0:1]
	v_add_nc_u64_e32 v[6:7], 4, v[6:7]
	;; [unrolled: 1-line block ×3, first 2 shown]
	s_delay_alu instid0(VALU_DEP_3) | instskip(SKIP_1) | instid1(SALU_CYCLE_1)
	v_cmp_ge_i64_e32 vcc_lo, v[0:1], v[2:3]
	s_or_b32 s1, vcc_lo, s1
	s_and_not1_b32 exec_lo, exec_lo, s1
	s_cbranch_execz .LBB42_17
.LBB42_4:                               ; =>This Inner Loop Header: Depth=1
	global_load_b32 v5, v[8:9], off
	s_and_b32 vcc_lo, exec_lo, s2
	s_mov_b32 s4, -1
                                        ; implicit-def: $sgpr0
	s_wait_loadcnt 0x0
	v_subrev_nc_u32_e32 v5, s8, v5
	s_cbranch_vccz .LBB42_10
; %bb.5:                                ;   in Loop: Header=BB42_4 Depth=1
	s_and_b32 vcc_lo, exec_lo, s3
                                        ; implicit-def: $sgpr0
	s_cbranch_vccz .LBB42_7
; %bb.6:                                ;   in Loop: Header=BB42_4 Depth=1
	s_delay_alu instid0(VALU_DEP_1)
	v_cmp_le_i32_e64 s0, v4, v5
	s_mov_b32 s4, 0
.LBB42_7:                               ;   in Loop: Header=BB42_4 Depth=1
	s_delay_alu instid0(SALU_CYCLE_1)
	s_and_not1_b32 vcc_lo, exec_lo, s4
	s_cbranch_vccnz .LBB42_9
; %bb.8:                                ;   in Loop: Header=BB42_4 Depth=1
	v_cmp_lt_i32_e32 vcc_lo, v4, v5
	s_and_not1_b32 s0, s0, exec_lo
	s_and_b32 s4, vcc_lo, exec_lo
	s_delay_alu instid0(SALU_CYCLE_1)
	s_or_b32 s0, s0, s4
.LBB42_9:                               ;   in Loop: Header=BB42_4 Depth=1
	s_mov_b32 s4, 0
.LBB42_10:                              ;   in Loop: Header=BB42_4 Depth=1
	s_delay_alu instid0(SALU_CYCLE_1)
	s_and_not1_b32 vcc_lo, exec_lo, s4
	s_cbranch_vccnz .LBB42_15
; %bb.11:                               ;   in Loop: Header=BB42_4 Depth=1
	s_and_b32 vcc_lo, exec_lo, s3
	s_mov_b32 s4, -1
                                        ; implicit-def: $sgpr0
	s_cbranch_vccz .LBB42_13
; %bb.12:                               ;   in Loop: Header=BB42_4 Depth=1
	v_cmp_ge_i32_e64 s0, v4, v5
	s_mov_b32 s4, 0
.LBB42_13:                              ;   in Loop: Header=BB42_4 Depth=1
	s_delay_alu instid0(SALU_CYCLE_1)
	s_and_not1_b32 vcc_lo, exec_lo, s4
	s_cbranch_vccnz .LBB42_15
; %bb.14:                               ;   in Loop: Header=BB42_4 Depth=1
	v_cmp_gt_i32_e32 vcc_lo, v4, v5
	s_and_not1_b32 s0, s0, exec_lo
	s_and_b32 s4, vcc_lo, exec_lo
	s_delay_alu instid0(SALU_CYCLE_1)
	s_or_b32 s0, s0, s4
.LBB42_15:                              ;   in Loop: Header=BB42_4 Depth=1
	s_wait_xcnt 0x0
	s_and_saveexec_b32 s4, s0
	s_cbranch_execz .LBB42_3
; %bb.16:                               ;   in Loop: Header=BB42_4 Depth=1
	global_load_b32 v16, v[6:7], off
	v_lshlrev_b64_e32 v[12:13], 2, v[10:11]
	v_add_nc_u64_e32 v[10:11], 1, v[10:11]
	v_add_nc_u32_e32 v5, s14, v5
	s_delay_alu instid0(VALU_DEP_3)
	v_add_nc_u64_e32 v[14:15], s[6:7], v[12:13]
	v_add_nc_u64_e32 v[12:13], s[12:13], v[12:13]
	global_store_b32 v[14:15], v5, off
	s_wait_loadcnt 0x0
	global_store_b32 v[12:13], v16, off
	s_branch .LBB42_3
.LBB42_17:
	s_endpgm
	.section	.rodata,"a",@progbits
	.p2align	6, 0x0
	.amdhsa_kernel _ZN9rocsparseL28internal_extract_fill_kernelILj1024EiliEEvT2_PKT1_PKS1_PKT0_21rocsparse_index_base_b20rocsparse_diag_type_S4_PS1_PS7_SA_
		.amdhsa_group_segment_fixed_size 0
		.amdhsa_private_segment_fixed_size 0
		.amdhsa_kernarg_size 336
		.amdhsa_user_sgpr_count 2
		.amdhsa_user_sgpr_dispatch_ptr 0
		.amdhsa_user_sgpr_queue_ptr 0
		.amdhsa_user_sgpr_kernarg_segment_ptr 1
		.amdhsa_user_sgpr_dispatch_id 0
		.amdhsa_user_sgpr_kernarg_preload_length 0
		.amdhsa_user_sgpr_kernarg_preload_offset 0
		.amdhsa_user_sgpr_private_segment_size 0
		.amdhsa_wavefront_size32 1
		.amdhsa_uses_dynamic_stack 0
		.amdhsa_enable_private_segment 0
		.amdhsa_system_sgpr_workgroup_id_x 1
		.amdhsa_system_sgpr_workgroup_id_y 0
		.amdhsa_system_sgpr_workgroup_id_z 0
		.amdhsa_system_sgpr_workgroup_info 0
		.amdhsa_system_vgpr_workitem_id 0
		.amdhsa_next_free_vgpr 17
		.amdhsa_next_free_sgpr 20
		.amdhsa_named_barrier_count 0
		.amdhsa_reserve_vcc 1
		.amdhsa_float_round_mode_32 0
		.amdhsa_float_round_mode_16_64 0
		.amdhsa_float_denorm_mode_32 3
		.amdhsa_float_denorm_mode_16_64 3
		.amdhsa_fp16_overflow 0
		.amdhsa_memory_ordered 1
		.amdhsa_forward_progress 1
		.amdhsa_inst_pref_size 5
		.amdhsa_round_robin_scheduling 0
		.amdhsa_exception_fp_ieee_invalid_op 0
		.amdhsa_exception_fp_denorm_src 0
		.amdhsa_exception_fp_ieee_div_zero 0
		.amdhsa_exception_fp_ieee_overflow 0
		.amdhsa_exception_fp_ieee_underflow 0
		.amdhsa_exception_fp_ieee_inexact 0
		.amdhsa_exception_int_div_zero 0
	.end_amdhsa_kernel
	.section	.text._ZN9rocsparseL28internal_extract_fill_kernelILj1024EiliEEvT2_PKT1_PKS1_PKT0_21rocsparse_index_base_b20rocsparse_diag_type_S4_PS1_PS7_SA_,"axG",@progbits,_ZN9rocsparseL28internal_extract_fill_kernelILj1024EiliEEvT2_PKT1_PKS1_PKT0_21rocsparse_index_base_b20rocsparse_diag_type_S4_PS1_PS7_SA_,comdat
.Lfunc_end42:
	.size	_ZN9rocsparseL28internal_extract_fill_kernelILj1024EiliEEvT2_PKT1_PKS1_PKT0_21rocsparse_index_base_b20rocsparse_diag_type_S4_PS1_PS7_SA_, .Lfunc_end42-_ZN9rocsparseL28internal_extract_fill_kernelILj1024EiliEEvT2_PKT1_PKS1_PKT0_21rocsparse_index_base_b20rocsparse_diag_type_S4_PS1_PS7_SA_
                                        ; -- End function
	.set _ZN9rocsparseL28internal_extract_fill_kernelILj1024EiliEEvT2_PKT1_PKS1_PKT0_21rocsparse_index_base_b20rocsparse_diag_type_S4_PS1_PS7_SA_.num_vgpr, 17
	.set _ZN9rocsparseL28internal_extract_fill_kernelILj1024EiliEEvT2_PKT1_PKS1_PKT0_21rocsparse_index_base_b20rocsparse_diag_type_S4_PS1_PS7_SA_.num_agpr, 0
	.set _ZN9rocsparseL28internal_extract_fill_kernelILj1024EiliEEvT2_PKT1_PKS1_PKT0_21rocsparse_index_base_b20rocsparse_diag_type_S4_PS1_PS7_SA_.numbered_sgpr, 20
	.set _ZN9rocsparseL28internal_extract_fill_kernelILj1024EiliEEvT2_PKT1_PKS1_PKT0_21rocsparse_index_base_b20rocsparse_diag_type_S4_PS1_PS7_SA_.num_named_barrier, 0
	.set _ZN9rocsparseL28internal_extract_fill_kernelILj1024EiliEEvT2_PKT1_PKS1_PKT0_21rocsparse_index_base_b20rocsparse_diag_type_S4_PS1_PS7_SA_.private_seg_size, 0
	.set _ZN9rocsparseL28internal_extract_fill_kernelILj1024EiliEEvT2_PKT1_PKS1_PKT0_21rocsparse_index_base_b20rocsparse_diag_type_S4_PS1_PS7_SA_.uses_vcc, 1
	.set _ZN9rocsparseL28internal_extract_fill_kernelILj1024EiliEEvT2_PKT1_PKS1_PKT0_21rocsparse_index_base_b20rocsparse_diag_type_S4_PS1_PS7_SA_.uses_flat_scratch, 0
	.set _ZN9rocsparseL28internal_extract_fill_kernelILj1024EiliEEvT2_PKT1_PKS1_PKT0_21rocsparse_index_base_b20rocsparse_diag_type_S4_PS1_PS7_SA_.has_dyn_sized_stack, 0
	.set _ZN9rocsparseL28internal_extract_fill_kernelILj1024EiliEEvT2_PKT1_PKS1_PKT0_21rocsparse_index_base_b20rocsparse_diag_type_S4_PS1_PS7_SA_.has_recursion, 0
	.set _ZN9rocsparseL28internal_extract_fill_kernelILj1024EiliEEvT2_PKT1_PKS1_PKT0_21rocsparse_index_base_b20rocsparse_diag_type_S4_PS1_PS7_SA_.has_indirect_call, 0
	.section	.AMDGPU.csdata,"",@progbits
; Kernel info:
; codeLenInByte = 600
; TotalNumSgprs: 22
; NumVgprs: 17
; ScratchSize: 0
; MemoryBound: 0
; FloatMode: 240
; IeeeMode: 1
; LDSByteSize: 0 bytes/workgroup (compile time only)
; SGPRBlocks: 0
; VGPRBlocks: 1
; NumSGPRsForWavesPerEU: 22
; NumVGPRsForWavesPerEU: 17
; NamedBarCnt: 0
; Occupancy: 16
; WaveLimiterHint : 0
; COMPUTE_PGM_RSRC2:SCRATCH_EN: 0
; COMPUTE_PGM_RSRC2:USER_SGPR: 2
; COMPUTE_PGM_RSRC2:TRAP_HANDLER: 0
; COMPUTE_PGM_RSRC2:TGID_X_EN: 1
; COMPUTE_PGM_RSRC2:TGID_Y_EN: 0
; COMPUTE_PGM_RSRC2:TGID_Z_EN: 0
; COMPUTE_PGM_RSRC2:TIDIG_COMP_CNT: 0
	.section	.text._ZN9rocsparseL28internal_extract_fill_kernelILj1024EillEEvT2_PKT1_PKS1_PKT0_21rocsparse_index_base_b20rocsparse_diag_type_S4_PS1_PS7_SA_,"axG",@progbits,_ZN9rocsparseL28internal_extract_fill_kernelILj1024EillEEvT2_PKT1_PKS1_PKT0_21rocsparse_index_base_b20rocsparse_diag_type_S4_PS1_PS7_SA_,comdat
	.globl	_ZN9rocsparseL28internal_extract_fill_kernelILj1024EillEEvT2_PKT1_PKS1_PKT0_21rocsparse_index_base_b20rocsparse_diag_type_S4_PS1_PS7_SA_ ; -- Begin function _ZN9rocsparseL28internal_extract_fill_kernelILj1024EillEEvT2_PKT1_PKS1_PKT0_21rocsparse_index_base_b20rocsparse_diag_type_S4_PS1_PS7_SA_
	.p2align	8
	.type	_ZN9rocsparseL28internal_extract_fill_kernelILj1024EillEEvT2_PKT1_PKS1_PKT0_21rocsparse_index_base_b20rocsparse_diag_type_S4_PS1_PS7_SA_,@function
_ZN9rocsparseL28internal_extract_fill_kernelILj1024EillEEvT2_PKT1_PKS1_PKT0_21rocsparse_index_base_b20rocsparse_diag_type_S4_PS1_PS7_SA_: ; @_ZN9rocsparseL28internal_extract_fill_kernelILj1024EillEEvT2_PKT1_PKS1_PKT0_21rocsparse_index_base_b20rocsparse_diag_type_S4_PS1_PS7_SA_
; %bb.0:
	s_clause 0x1
	s_load_b32 s4, s[0:1], 0x5c
	s_load_b64 s[2:3], s[0:1], 0x0
	s_bfe_u32 s5, ttmp6, 0x4000c
	s_and_b32 s6, ttmp6, 15
	s_add_co_i32 s5, s5, 1
	s_getreg_b32 s7, hwreg(HW_REG_IB_STS2, 6, 4)
	s_mul_i32 s5, ttmp9, s5
	v_mov_b32_e32 v5, 0
	s_add_co_i32 s6, s6, s5
	s_wait_kmcnt 0x0
	s_and_b32 s4, s4, 0xffff
	s_cmp_eq_u32 s7, 0
	s_cselect_b32 s5, ttmp9, s6
	s_delay_alu instid0(SALU_CYCLE_1) | instskip(NEXT) | instid1(VALU_DEP_1)
	v_mad_u32 v4, s5, s4, v0
	v_cmp_gt_i64_e32 vcc_lo, s[2:3], v[4:5]
	s_and_saveexec_b32 s2, vcc_lo
	s_cbranch_execz .LBB43_17
; %bb.1:
	s_load_b64 s[2:3], s[0:1], 0x8
	s_wait_kmcnt 0x0
	v_lshl_add_u64 v[0:1], v[4:5], 3, s[2:3]
	global_load_b128 v[0:3], v[0:1], off
	s_wait_loadcnt 0x0
	v_cmp_lt_i64_e32 vcc_lo, v[0:1], v[2:3]
	s_and_b32 exec_lo, exec_lo, vcc_lo
	s_cbranch_execz .LBB43_17
; %bb.2:
	s_load_b128 s[4:7], s[0:1], 0x30
	v_lshlrev_b64_e32 v[10:11], 3, v[0:1]
	s_wait_kmcnt 0x0
	v_lshl_add_u64 v[6:7], v[4:5], 3, s[4:5]
	global_load_b64 v[8:9], v[6:7], off
	s_clause 0x2
	s_load_b96 s[16:18], s[0:1], 0x20
	s_load_b96 s[8:10], s[0:1], 0x40
	s_load_b128 s[12:15], s[0:1], 0x10
	v_lshlrev_b64_e32 v[6:7], 2, v[0:1]
	s_wait_xcnt 0x0
	s_mov_b32 s1, 0
	s_delay_alu instid0(SALU_CYCLE_1)
	s_mov_b32 s3, s1
	s_wait_kmcnt 0x0
	s_bitcmp1_b32 s17, 0
	s_mov_b32 s2, s16
	s_cselect_b32 s0, -1, 0
	v_sub_nc_u64_e64 v[2:3], v[2:3], s[2:3]
	s_xor_b32 s4, s0, -1
	s_cmp_lg_u32 s18, 1
	s_mov_b32 s0, s10
	s_cselect_b32 s5, -1, 0
	s_lshl_b64 s[16:17], s[2:3], 2
	s_lshl_b64 s[18:19], s[2:3], 3
	v_sub_nc_u64_e64 v[6:7], v[6:7], s[16:17]
	v_sub_nc_u64_e64 v[12:13], v[10:11], s[18:19]
	;; [unrolled: 1-line block ×3, first 2 shown]
	s_mov_b32 s10, s1
	s_delay_alu instid0(VALU_DEP_3) | instskip(SKIP_2) | instid1(VALU_DEP_4)
	v_add_nc_u64_e32 v[6:7], s[14:15], v[6:7]
	s_wait_loadcnt 0x0
	v_sub_nc_u64_e64 v[10:11], v[8:9], s[0:1]
	v_add_nc_u64_e32 v[8:9], s[12:13], v[12:13]
	s_branch .LBB43_4
.LBB43_3:                               ;   in Loop: Header=BB43_4 Depth=1
	s_wait_xcnt 0x0
	s_or_b32 exec_lo, exec_lo, s12
	v_add_nc_u64_e32 v[0:1], 1, v[0:1]
	v_add_nc_u64_e32 v[6:7], 4, v[6:7]
	;; [unrolled: 1-line block ×3, first 2 shown]
	s_delay_alu instid0(VALU_DEP_3) | instskip(SKIP_1) | instid1(SALU_CYCLE_1)
	v_cmp_ge_i64_e32 vcc_lo, v[0:1], v[2:3]
	s_or_b32 s10, vcc_lo, s10
	s_and_not1_b32 exec_lo, exec_lo, s10
	s_cbranch_execz .LBB43_17
.LBB43_4:                               ; =>This Inner Loop Header: Depth=1
	global_load_b64 v[12:13], v[8:9], off
	s_and_b32 vcc_lo, exec_lo, s4
	s_mov_b32 s12, -1
                                        ; implicit-def: $sgpr11
	s_wait_loadcnt 0x0
	v_sub_nc_u64_e64 v[12:13], v[12:13], s[2:3]
	s_cbranch_vccz .LBB43_10
; %bb.5:                                ;   in Loop: Header=BB43_4 Depth=1
	s_and_b32 vcc_lo, exec_lo, s5
                                        ; implicit-def: $sgpr11
	s_cbranch_vccz .LBB43_7
; %bb.6:                                ;   in Loop: Header=BB43_4 Depth=1
	s_delay_alu instid0(VALU_DEP_1)
	v_cmp_ge_i64_e64 s11, v[12:13], v[4:5]
	s_mov_b32 s12, 0
.LBB43_7:                               ;   in Loop: Header=BB43_4 Depth=1
	s_delay_alu instid0(SALU_CYCLE_1)
	s_and_not1_b32 vcc_lo, exec_lo, s12
	s_cbranch_vccnz .LBB43_9
; %bb.8:                                ;   in Loop: Header=BB43_4 Depth=1
	s_delay_alu instid0(VALU_DEP_1) | instskip(SKIP_2) | instid1(SALU_CYCLE_1)
	v_cmp_gt_i64_e32 vcc_lo, v[12:13], v[4:5]
	s_and_not1_b32 s11, s11, exec_lo
	s_and_b32 s12, vcc_lo, exec_lo
	s_or_b32 s11, s11, s12
.LBB43_9:                               ;   in Loop: Header=BB43_4 Depth=1
	s_mov_b32 s12, 0
.LBB43_10:                              ;   in Loop: Header=BB43_4 Depth=1
	s_delay_alu instid0(SALU_CYCLE_1)
	s_and_not1_b32 vcc_lo, exec_lo, s12
	s_cbranch_vccnz .LBB43_15
; %bb.11:                               ;   in Loop: Header=BB43_4 Depth=1
	s_and_b32 vcc_lo, exec_lo, s5
	s_mov_b32 s12, -1
                                        ; implicit-def: $sgpr11
	s_cbranch_vccz .LBB43_13
; %bb.12:                               ;   in Loop: Header=BB43_4 Depth=1
	v_cmp_le_i64_e64 s11, v[12:13], v[4:5]
	s_mov_b32 s12, 0
.LBB43_13:                              ;   in Loop: Header=BB43_4 Depth=1
	s_delay_alu instid0(SALU_CYCLE_1)
	s_and_not1_b32 vcc_lo, exec_lo, s12
	s_cbranch_vccnz .LBB43_15
; %bb.14:                               ;   in Loop: Header=BB43_4 Depth=1
	v_cmp_lt_i64_e32 vcc_lo, v[12:13], v[4:5]
	s_and_not1_b32 s11, s11, exec_lo
	s_and_b32 s12, vcc_lo, exec_lo
	s_delay_alu instid0(SALU_CYCLE_1)
	s_or_b32 s11, s11, s12
.LBB43_15:                              ;   in Loop: Header=BB43_4 Depth=1
	s_wait_xcnt 0x0
	s_and_saveexec_b32 s12, s11
	s_cbranch_execz .LBB43_3
; %bb.16:                               ;   in Loop: Header=BB43_4 Depth=1
	global_load_b32 v20, v[6:7], off
	v_add_nc_u64_e32 v[14:15], 1, v[10:11]
	v_add_nc_u64_e32 v[12:13], s[0:1], v[12:13]
	v_lshl_add_u64 v[16:17], v[10:11], 3, s[6:7]
	v_lshl_add_u64 v[18:19], v[10:11], 2, s[8:9]
	global_store_b64 v[16:17], v[12:13], off
	s_wait_loadcnt 0x0
	global_store_b32 v[18:19], v20, off
	v_mov_b64_e32 v[10:11], v[14:15]
	s_branch .LBB43_3
.LBB43_17:
	s_endpgm
	.section	.rodata,"a",@progbits
	.p2align	6, 0x0
	.amdhsa_kernel _ZN9rocsparseL28internal_extract_fill_kernelILj1024EillEEvT2_PKT1_PKS1_PKT0_21rocsparse_index_base_b20rocsparse_diag_type_S4_PS1_PS7_SA_
		.amdhsa_group_segment_fixed_size 0
		.amdhsa_private_segment_fixed_size 0
		.amdhsa_kernarg_size 336
		.amdhsa_user_sgpr_count 2
		.amdhsa_user_sgpr_dispatch_ptr 0
		.amdhsa_user_sgpr_queue_ptr 0
		.amdhsa_user_sgpr_kernarg_segment_ptr 1
		.amdhsa_user_sgpr_dispatch_id 0
		.amdhsa_user_sgpr_kernarg_preload_length 0
		.amdhsa_user_sgpr_kernarg_preload_offset 0
		.amdhsa_user_sgpr_private_segment_size 0
		.amdhsa_wavefront_size32 1
		.amdhsa_uses_dynamic_stack 0
		.amdhsa_enable_private_segment 0
		.amdhsa_system_sgpr_workgroup_id_x 1
		.amdhsa_system_sgpr_workgroup_id_y 0
		.amdhsa_system_sgpr_workgroup_id_z 0
		.amdhsa_system_sgpr_workgroup_info 0
		.amdhsa_system_vgpr_workitem_id 0
		.amdhsa_next_free_vgpr 21
		.amdhsa_next_free_sgpr 20
		.amdhsa_named_barrier_count 0
		.amdhsa_reserve_vcc 1
		.amdhsa_float_round_mode_32 0
		.amdhsa_float_round_mode_16_64 0
		.amdhsa_float_denorm_mode_32 3
		.amdhsa_float_denorm_mode_16_64 3
		.amdhsa_fp16_overflow 0
		.amdhsa_memory_ordered 1
		.amdhsa_forward_progress 1
		.amdhsa_inst_pref_size 5
		.amdhsa_round_robin_scheduling 0
		.amdhsa_exception_fp_ieee_invalid_op 0
		.amdhsa_exception_fp_denorm_src 0
		.amdhsa_exception_fp_ieee_div_zero 0
		.amdhsa_exception_fp_ieee_overflow 0
		.amdhsa_exception_fp_ieee_underflow 0
		.amdhsa_exception_fp_ieee_inexact 0
		.amdhsa_exception_int_div_zero 0
	.end_amdhsa_kernel
	.section	.text._ZN9rocsparseL28internal_extract_fill_kernelILj1024EillEEvT2_PKT1_PKS1_PKT0_21rocsparse_index_base_b20rocsparse_diag_type_S4_PS1_PS7_SA_,"axG",@progbits,_ZN9rocsparseL28internal_extract_fill_kernelILj1024EillEEvT2_PKT1_PKS1_PKT0_21rocsparse_index_base_b20rocsparse_diag_type_S4_PS1_PS7_SA_,comdat
.Lfunc_end43:
	.size	_ZN9rocsparseL28internal_extract_fill_kernelILj1024EillEEvT2_PKT1_PKS1_PKT0_21rocsparse_index_base_b20rocsparse_diag_type_S4_PS1_PS7_SA_, .Lfunc_end43-_ZN9rocsparseL28internal_extract_fill_kernelILj1024EillEEvT2_PKT1_PKS1_PKT0_21rocsparse_index_base_b20rocsparse_diag_type_S4_PS1_PS7_SA_
                                        ; -- End function
	.set _ZN9rocsparseL28internal_extract_fill_kernelILj1024EillEEvT2_PKT1_PKS1_PKT0_21rocsparse_index_base_b20rocsparse_diag_type_S4_PS1_PS7_SA_.num_vgpr, 21
	.set _ZN9rocsparseL28internal_extract_fill_kernelILj1024EillEEvT2_PKT1_PKS1_PKT0_21rocsparse_index_base_b20rocsparse_diag_type_S4_PS1_PS7_SA_.num_agpr, 0
	.set _ZN9rocsparseL28internal_extract_fill_kernelILj1024EillEEvT2_PKT1_PKS1_PKT0_21rocsparse_index_base_b20rocsparse_diag_type_S4_PS1_PS7_SA_.numbered_sgpr, 20
	.set _ZN9rocsparseL28internal_extract_fill_kernelILj1024EillEEvT2_PKT1_PKS1_PKT0_21rocsparse_index_base_b20rocsparse_diag_type_S4_PS1_PS7_SA_.num_named_barrier, 0
	.set _ZN9rocsparseL28internal_extract_fill_kernelILj1024EillEEvT2_PKT1_PKS1_PKT0_21rocsparse_index_base_b20rocsparse_diag_type_S4_PS1_PS7_SA_.private_seg_size, 0
	.set _ZN9rocsparseL28internal_extract_fill_kernelILj1024EillEEvT2_PKT1_PKS1_PKT0_21rocsparse_index_base_b20rocsparse_diag_type_S4_PS1_PS7_SA_.uses_vcc, 1
	.set _ZN9rocsparseL28internal_extract_fill_kernelILj1024EillEEvT2_PKT1_PKS1_PKT0_21rocsparse_index_base_b20rocsparse_diag_type_S4_PS1_PS7_SA_.uses_flat_scratch, 0
	.set _ZN9rocsparseL28internal_extract_fill_kernelILj1024EillEEvT2_PKT1_PKS1_PKT0_21rocsparse_index_base_b20rocsparse_diag_type_S4_PS1_PS7_SA_.has_dyn_sized_stack, 0
	.set _ZN9rocsparseL28internal_extract_fill_kernelILj1024EillEEvT2_PKT1_PKS1_PKT0_21rocsparse_index_base_b20rocsparse_diag_type_S4_PS1_PS7_SA_.has_recursion, 0
	.set _ZN9rocsparseL28internal_extract_fill_kernelILj1024EillEEvT2_PKT1_PKS1_PKT0_21rocsparse_index_base_b20rocsparse_diag_type_S4_PS1_PS7_SA_.has_indirect_call, 0
	.section	.AMDGPU.csdata,"",@progbits
; Kernel info:
; codeLenInByte = 624
; TotalNumSgprs: 22
; NumVgprs: 21
; ScratchSize: 0
; MemoryBound: 0
; FloatMode: 240
; IeeeMode: 1
; LDSByteSize: 0 bytes/workgroup (compile time only)
; SGPRBlocks: 0
; VGPRBlocks: 1
; NumSGPRsForWavesPerEU: 22
; NumVGPRsForWavesPerEU: 21
; NamedBarCnt: 0
; Occupancy: 16
; WaveLimiterHint : 0
; COMPUTE_PGM_RSRC2:SCRATCH_EN: 0
; COMPUTE_PGM_RSRC2:USER_SGPR: 2
; COMPUTE_PGM_RSRC2:TRAP_HANDLER: 0
; COMPUTE_PGM_RSRC2:TGID_X_EN: 1
; COMPUTE_PGM_RSRC2:TGID_Y_EN: 0
; COMPUTE_PGM_RSRC2:TGID_Z_EN: 0
; COMPUTE_PGM_RSRC2:TIDIG_COMP_CNT: 0
	.section	.text._ZN9rocsparseL28internal_extract_fill_kernelILj1024EjiiEEvT2_PKT1_PKS1_PKT0_21rocsparse_index_base_b20rocsparse_diag_type_S4_PS1_PS7_SA_,"axG",@progbits,_ZN9rocsparseL28internal_extract_fill_kernelILj1024EjiiEEvT2_PKT1_PKS1_PKT0_21rocsparse_index_base_b20rocsparse_diag_type_S4_PS1_PS7_SA_,comdat
	.globl	_ZN9rocsparseL28internal_extract_fill_kernelILj1024EjiiEEvT2_PKT1_PKS1_PKT0_21rocsparse_index_base_b20rocsparse_diag_type_S4_PS1_PS7_SA_ ; -- Begin function _ZN9rocsparseL28internal_extract_fill_kernelILj1024EjiiEEvT2_PKT1_PKS1_PKT0_21rocsparse_index_base_b20rocsparse_diag_type_S4_PS1_PS7_SA_
	.p2align	8
	.type	_ZN9rocsparseL28internal_extract_fill_kernelILj1024EjiiEEvT2_PKT1_PKS1_PKT0_21rocsparse_index_base_b20rocsparse_diag_type_S4_PS1_PS7_SA_,@function
_ZN9rocsparseL28internal_extract_fill_kernelILj1024EjiiEEvT2_PKT1_PKS1_PKT0_21rocsparse_index_base_b20rocsparse_diag_type_S4_PS1_PS7_SA_: ; @_ZN9rocsparseL28internal_extract_fill_kernelILj1024EjiiEEvT2_PKT1_PKS1_PKT0_21rocsparse_index_base_b20rocsparse_diag_type_S4_PS1_PS7_SA_
; %bb.0:
	s_clause 0x1
	s_load_b32 s2, s[0:1], 0x5c
	s_load_b32 s3, s[0:1], 0x0
	s_bfe_u32 s4, ttmp6, 0x4000c
	s_and_b32 s5, ttmp6, 15
	s_add_co_i32 s4, s4, 1
	s_getreg_b32 s6, hwreg(HW_REG_IB_STS2, 6, 4)
	s_mul_i32 s4, ttmp9, s4
	s_delay_alu instid0(SALU_CYCLE_1) | instskip(SKIP_4) | instid1(SALU_CYCLE_1)
	s_add_co_i32 s5, s5, s4
	s_wait_kmcnt 0x0
	s_and_b32 s2, s2, 0xffff
	s_cmp_eq_u32 s6, 0
	s_cselect_b32 s4, ttmp9, s5
	v_mad_u32 v0, s4, s2, v0
	s_mov_b32 s2, exec_lo
	s_delay_alu instid0(VALU_DEP_1)
	v_cmpx_gt_i32_e64 s3, v0
	s_cbranch_execz .LBB44_17
; %bb.1:
	s_load_b64 s[2:3], s[0:1], 0x8
	v_ashrrev_i32_e32 v1, 31, v0
	s_wait_kmcnt 0x0
	s_delay_alu instid0(VALU_DEP_1)
	v_lshl_add_u64 v[2:3], v[0:1], 2, s[2:3]
	global_load_b64 v[4:5], v[2:3], off
	s_wait_loadcnt 0x0
	v_cmp_lt_i32_e32 vcc_lo, v4, v5
	s_and_b32 exec_lo, exec_lo, vcc_lo
	s_cbranch_execz .LBB44_17
; %bb.2:
	s_load_b128 s[4:7], s[0:1], 0x30
	s_mov_b32 s2, 0
	s_wait_kmcnt 0x0
	v_lshl_add_u64 v[2:3], v[0:1], 2, s[4:5]
	global_load_b32 v8, v[2:3], off
	s_clause 0x2
	s_load_b96 s[8:10], s[0:1], 0x20
	s_load_b128 s[16:19], s[0:1], 0x10
	s_load_b96 s[12:14], s[0:1], 0x40
	s_wait_kmcnt 0x0
	v_subrev_nc_u32_e32 v2, s8, v4
	s_bitcmp1_b32 s9, 0
	v_subrev_nc_u32_e32 v1, s8, v5
	s_cselect_b32 s0, -1, 0
	s_delay_alu instid0(VALU_DEP_2) | instskip(SKIP_3) | instid1(VALU_DEP_1)
	v_ashrrev_i32_e32 v3, 31, v2
	s_xor_b32 s0, s0, -1
	s_cmp_lg_u32 s10, 1
	s_cselect_b32 s1, -1, 0
	v_lshlrev_b64_e32 v[6:7], 2, v[2:3]
	s_delay_alu instid0(VALU_DEP_1)
	v_add_nc_u64_e32 v[4:5], s[16:17], v[6:7]
	v_add_nc_u64_e32 v[6:7], s[18:19], v[6:7]
	s_wait_loadcnt 0x0
	v_subrev_nc_u32_e32 v3, s14, v8
	s_branch .LBB44_4
.LBB44_3:                               ;   in Loop: Header=BB44_4 Depth=1
	s_or_b32 exec_lo, exec_lo, s4
	v_add_nc_u32_e32 v2, 1, v2
	v_add_nc_u64_e32 v[4:5], 4, v[4:5]
	v_add_nc_u64_e32 v[6:7], 4, v[6:7]
	s_delay_alu instid0(VALU_DEP_3) | instskip(SKIP_1) | instid1(SALU_CYCLE_1)
	v_cmp_ge_i32_e32 vcc_lo, v2, v1
	s_or_b32 s2, vcc_lo, s2
	s_and_not1_b32 exec_lo, exec_lo, s2
	s_cbranch_execz .LBB44_17
.LBB44_4:                               ; =>This Inner Loop Header: Depth=1
	global_load_b32 v8, v[4:5], off
	s_and_b32 vcc_lo, exec_lo, s0
	s_mov_b32 s4, -1
                                        ; implicit-def: $sgpr3
	s_wait_loadcnt 0x0
	v_subrev_nc_u32_e32 v8, s8, v8
	s_cbranch_vccz .LBB44_10
; %bb.5:                                ;   in Loop: Header=BB44_4 Depth=1
	s_and_b32 vcc_lo, exec_lo, s1
                                        ; implicit-def: $sgpr3
	s_cbranch_vccz .LBB44_7
; %bb.6:                                ;   in Loop: Header=BB44_4 Depth=1
	s_delay_alu instid0(VALU_DEP_1)
	v_cmp_le_i32_e64 s3, v0, v8
	s_mov_b32 s4, 0
.LBB44_7:                               ;   in Loop: Header=BB44_4 Depth=1
	s_delay_alu instid0(SALU_CYCLE_1)
	s_and_not1_b32 vcc_lo, exec_lo, s4
	s_cbranch_vccnz .LBB44_9
; %bb.8:                                ;   in Loop: Header=BB44_4 Depth=1
	v_cmp_lt_i32_e32 vcc_lo, v0, v8
	s_and_not1_b32 s3, s3, exec_lo
	s_and_b32 s4, vcc_lo, exec_lo
	s_delay_alu instid0(SALU_CYCLE_1)
	s_or_b32 s3, s3, s4
.LBB44_9:                               ;   in Loop: Header=BB44_4 Depth=1
	s_mov_b32 s4, 0
.LBB44_10:                              ;   in Loop: Header=BB44_4 Depth=1
	s_delay_alu instid0(SALU_CYCLE_1)
	s_and_not1_b32 vcc_lo, exec_lo, s4
	s_cbranch_vccnz .LBB44_15
; %bb.11:                               ;   in Loop: Header=BB44_4 Depth=1
	s_and_b32 vcc_lo, exec_lo, s1
	s_mov_b32 s4, -1
                                        ; implicit-def: $sgpr3
	s_cbranch_vccz .LBB44_13
; %bb.12:                               ;   in Loop: Header=BB44_4 Depth=1
	v_cmp_ge_i32_e64 s3, v0, v8
	s_mov_b32 s4, 0
.LBB44_13:                              ;   in Loop: Header=BB44_4 Depth=1
	s_delay_alu instid0(SALU_CYCLE_1)
	s_and_not1_b32 vcc_lo, exec_lo, s4
	s_cbranch_vccnz .LBB44_15
; %bb.14:                               ;   in Loop: Header=BB44_4 Depth=1
	v_cmp_gt_i32_e32 vcc_lo, v0, v8
	s_and_not1_b32 s3, s3, exec_lo
	s_and_b32 s4, vcc_lo, exec_lo
	s_delay_alu instid0(SALU_CYCLE_1)
	s_or_b32 s3, s3, s4
.LBB44_15:                              ;   in Loop: Header=BB44_4 Depth=1
	s_wait_xcnt 0x0
	s_and_saveexec_b32 s4, s3
	s_cbranch_execz .LBB44_3
; %bb.16:                               ;   in Loop: Header=BB44_4 Depth=1
	global_load_b32 v9, v[6:7], off
	v_dual_add_nc_u32 v8, s14, v8 :: v_dual_add_nc_u32 v10, 1, v3
	global_store_b32 v3, v8, s[6:7] scale_offset
	s_wait_loadcnt 0x0
	global_store_b32 v3, v9, s[12:13] scale_offset
	s_wait_xcnt 0x0
	v_mov_b32_e32 v3, v10
	s_branch .LBB44_3
.LBB44_17:
	s_endpgm
	.section	.rodata,"a",@progbits
	.p2align	6, 0x0
	.amdhsa_kernel _ZN9rocsparseL28internal_extract_fill_kernelILj1024EjiiEEvT2_PKT1_PKS1_PKT0_21rocsparse_index_base_b20rocsparse_diag_type_S4_PS1_PS7_SA_
		.amdhsa_group_segment_fixed_size 0
		.amdhsa_private_segment_fixed_size 0
		.amdhsa_kernarg_size 336
		.amdhsa_user_sgpr_count 2
		.amdhsa_user_sgpr_dispatch_ptr 0
		.amdhsa_user_sgpr_queue_ptr 0
		.amdhsa_user_sgpr_kernarg_segment_ptr 1
		.amdhsa_user_sgpr_dispatch_id 0
		.amdhsa_user_sgpr_kernarg_preload_length 0
		.amdhsa_user_sgpr_kernarg_preload_offset 0
		.amdhsa_user_sgpr_private_segment_size 0
		.amdhsa_wavefront_size32 1
		.amdhsa_uses_dynamic_stack 0
		.amdhsa_enable_private_segment 0
		.amdhsa_system_sgpr_workgroup_id_x 1
		.amdhsa_system_sgpr_workgroup_id_y 0
		.amdhsa_system_sgpr_workgroup_id_z 0
		.amdhsa_system_sgpr_workgroup_info 0
		.amdhsa_system_vgpr_workitem_id 0
		.amdhsa_next_free_vgpr 11
		.amdhsa_next_free_sgpr 20
		.amdhsa_named_barrier_count 0
		.amdhsa_reserve_vcc 1
		.amdhsa_float_round_mode_32 0
		.amdhsa_float_round_mode_16_64 0
		.amdhsa_float_denorm_mode_32 3
		.amdhsa_float_denorm_mode_16_64 3
		.amdhsa_fp16_overflow 0
		.amdhsa_memory_ordered 1
		.amdhsa_forward_progress 1
		.amdhsa_inst_pref_size 5
		.amdhsa_round_robin_scheduling 0
		.amdhsa_exception_fp_ieee_invalid_op 0
		.amdhsa_exception_fp_denorm_src 0
		.amdhsa_exception_fp_ieee_div_zero 0
		.amdhsa_exception_fp_ieee_overflow 0
		.amdhsa_exception_fp_ieee_underflow 0
		.amdhsa_exception_fp_ieee_inexact 0
		.amdhsa_exception_int_div_zero 0
	.end_amdhsa_kernel
	.section	.text._ZN9rocsparseL28internal_extract_fill_kernelILj1024EjiiEEvT2_PKT1_PKS1_PKT0_21rocsparse_index_base_b20rocsparse_diag_type_S4_PS1_PS7_SA_,"axG",@progbits,_ZN9rocsparseL28internal_extract_fill_kernelILj1024EjiiEEvT2_PKT1_PKS1_PKT0_21rocsparse_index_base_b20rocsparse_diag_type_S4_PS1_PS7_SA_,comdat
.Lfunc_end44:
	.size	_ZN9rocsparseL28internal_extract_fill_kernelILj1024EjiiEEvT2_PKT1_PKS1_PKT0_21rocsparse_index_base_b20rocsparse_diag_type_S4_PS1_PS7_SA_, .Lfunc_end44-_ZN9rocsparseL28internal_extract_fill_kernelILj1024EjiiEEvT2_PKT1_PKS1_PKT0_21rocsparse_index_base_b20rocsparse_diag_type_S4_PS1_PS7_SA_
                                        ; -- End function
	.set _ZN9rocsparseL28internal_extract_fill_kernelILj1024EjiiEEvT2_PKT1_PKS1_PKT0_21rocsparse_index_base_b20rocsparse_diag_type_S4_PS1_PS7_SA_.num_vgpr, 11
	.set _ZN9rocsparseL28internal_extract_fill_kernelILj1024EjiiEEvT2_PKT1_PKS1_PKT0_21rocsparse_index_base_b20rocsparse_diag_type_S4_PS1_PS7_SA_.num_agpr, 0
	.set _ZN9rocsparseL28internal_extract_fill_kernelILj1024EjiiEEvT2_PKT1_PKS1_PKT0_21rocsparse_index_base_b20rocsparse_diag_type_S4_PS1_PS7_SA_.numbered_sgpr, 20
	.set _ZN9rocsparseL28internal_extract_fill_kernelILj1024EjiiEEvT2_PKT1_PKS1_PKT0_21rocsparse_index_base_b20rocsparse_diag_type_S4_PS1_PS7_SA_.num_named_barrier, 0
	.set _ZN9rocsparseL28internal_extract_fill_kernelILj1024EjiiEEvT2_PKT1_PKS1_PKT0_21rocsparse_index_base_b20rocsparse_diag_type_S4_PS1_PS7_SA_.private_seg_size, 0
	.set _ZN9rocsparseL28internal_extract_fill_kernelILj1024EjiiEEvT2_PKT1_PKS1_PKT0_21rocsparse_index_base_b20rocsparse_diag_type_S4_PS1_PS7_SA_.uses_vcc, 1
	.set _ZN9rocsparseL28internal_extract_fill_kernelILj1024EjiiEEvT2_PKT1_PKS1_PKT0_21rocsparse_index_base_b20rocsparse_diag_type_S4_PS1_PS7_SA_.uses_flat_scratch, 0
	.set _ZN9rocsparseL28internal_extract_fill_kernelILj1024EjiiEEvT2_PKT1_PKS1_PKT0_21rocsparse_index_base_b20rocsparse_diag_type_S4_PS1_PS7_SA_.has_dyn_sized_stack, 0
	.set _ZN9rocsparseL28internal_extract_fill_kernelILj1024EjiiEEvT2_PKT1_PKS1_PKT0_21rocsparse_index_base_b20rocsparse_diag_type_S4_PS1_PS7_SA_.has_recursion, 0
	.set _ZN9rocsparseL28internal_extract_fill_kernelILj1024EjiiEEvT2_PKT1_PKS1_PKT0_21rocsparse_index_base_b20rocsparse_diag_type_S4_PS1_PS7_SA_.has_indirect_call, 0
	.section	.AMDGPU.csdata,"",@progbits
; Kernel info:
; codeLenInByte = 564
; TotalNumSgprs: 22
; NumVgprs: 11
; ScratchSize: 0
; MemoryBound: 0
; FloatMode: 240
; IeeeMode: 1
; LDSByteSize: 0 bytes/workgroup (compile time only)
; SGPRBlocks: 0
; VGPRBlocks: 0
; NumSGPRsForWavesPerEU: 22
; NumVGPRsForWavesPerEU: 11
; NamedBarCnt: 0
; Occupancy: 16
; WaveLimiterHint : 0
; COMPUTE_PGM_RSRC2:SCRATCH_EN: 0
; COMPUTE_PGM_RSRC2:USER_SGPR: 2
; COMPUTE_PGM_RSRC2:TRAP_HANDLER: 0
; COMPUTE_PGM_RSRC2:TGID_X_EN: 1
; COMPUTE_PGM_RSRC2:TGID_Y_EN: 0
; COMPUTE_PGM_RSRC2:TGID_Z_EN: 0
; COMPUTE_PGM_RSRC2:TIDIG_COMP_CNT: 0
	.section	.text._ZN9rocsparseL28internal_extract_fill_kernelILj1024EjilEEvT2_PKT1_PKS1_PKT0_21rocsparse_index_base_b20rocsparse_diag_type_S4_PS1_PS7_SA_,"axG",@progbits,_ZN9rocsparseL28internal_extract_fill_kernelILj1024EjilEEvT2_PKT1_PKS1_PKT0_21rocsparse_index_base_b20rocsparse_diag_type_S4_PS1_PS7_SA_,comdat
	.globl	_ZN9rocsparseL28internal_extract_fill_kernelILj1024EjilEEvT2_PKT1_PKS1_PKT0_21rocsparse_index_base_b20rocsparse_diag_type_S4_PS1_PS7_SA_ ; -- Begin function _ZN9rocsparseL28internal_extract_fill_kernelILj1024EjilEEvT2_PKT1_PKS1_PKT0_21rocsparse_index_base_b20rocsparse_diag_type_S4_PS1_PS7_SA_
	.p2align	8
	.type	_ZN9rocsparseL28internal_extract_fill_kernelILj1024EjilEEvT2_PKT1_PKS1_PKT0_21rocsparse_index_base_b20rocsparse_diag_type_S4_PS1_PS7_SA_,@function
_ZN9rocsparseL28internal_extract_fill_kernelILj1024EjilEEvT2_PKT1_PKS1_PKT0_21rocsparse_index_base_b20rocsparse_diag_type_S4_PS1_PS7_SA_: ; @_ZN9rocsparseL28internal_extract_fill_kernelILj1024EjilEEvT2_PKT1_PKS1_PKT0_21rocsparse_index_base_b20rocsparse_diag_type_S4_PS1_PS7_SA_
; %bb.0:
	s_clause 0x1
	s_load_b32 s4, s[0:1], 0x5c
	s_load_b64 s[2:3], s[0:1], 0x0
	s_bfe_u32 s5, ttmp6, 0x4000c
	s_and_b32 s6, ttmp6, 15
	s_add_co_i32 s5, s5, 1
	s_getreg_b32 s7, hwreg(HW_REG_IB_STS2, 6, 4)
	s_mul_i32 s5, ttmp9, s5
	s_delay_alu instid0(SALU_CYCLE_1) | instskip(SKIP_4) | instid1(SALU_CYCLE_1)
	s_add_co_i32 s6, s6, s5
	s_wait_kmcnt 0x0
	s_and_b32 s4, s4, 0xffff
	s_cmp_eq_u32 s7, 0
	s_cselect_b32 s5, ttmp9, s6
	v_mad_u32 v0, s5, s4, v0
	s_delay_alu instid0(VALU_DEP_1) | instskip(NEXT) | instid1(VALU_DEP_1)
	v_ashrrev_i32_e32 v1, 31, v0
	v_cmp_gt_i64_e32 vcc_lo, s[2:3], v[0:1]
	s_and_saveexec_b32 s2, vcc_lo
	s_cbranch_execz .LBB45_17
; %bb.1:
	s_load_b64 s[2:3], s[0:1], 0x8
	s_wait_kmcnt 0x0
	v_lshl_add_u64 v[2:3], v[0:1], 2, s[2:3]
	global_load_b64 v[2:3], v[2:3], off
	s_wait_loadcnt 0x0
	v_cmp_lt_i32_e32 vcc_lo, v2, v3
	s_and_b32 exec_lo, exec_lo, vcc_lo
	s_cbranch_execz .LBB45_17
; %bb.2:
	s_load_b128 s[4:7], s[0:1], 0x30
	s_wait_kmcnt 0x0
	v_lshl_add_u64 v[4:5], v[0:1], 2, s[4:5]
	global_load_b32 v6, v[4:5], off
	s_clause 0x2
	s_load_b96 s[8:10], s[0:1], 0x20
	s_load_b96 s[12:14], s[0:1], 0x40
	s_load_b128 s[16:19], s[0:1], 0x10
	s_wait_xcnt 0x0
	s_mov_b32 s1, 0
	s_delay_alu instid0(SALU_CYCLE_1)
	s_mov_b32 s4, s1
	s_wait_kmcnt 0x0
	v_subrev_nc_u32_e32 v2, s8, v2
	v_subrev_nc_u32_e32 v10, s8, v3
	s_bitcmp1_b32 s9, 0
	s_mov_b32 s0, s14
	s_cselect_b32 s2, -1, 0
	v_ashrrev_i32_e32 v3, 31, v2
	s_xor_b32 s2, s2, -1
	s_cmp_lg_u32 s10, 1
	s_mov_b32 s9, s1
	s_cselect_b32 s3, -1, 0
	v_lshl_add_u64 v[4:5], v[2:3], 3, s[16:17]
	s_wait_loadcnt 0x0
	v_subrev_nc_u32_e32 v11, s14, v6
	v_lshl_add_u64 v[6:7], v[2:3], 2, s[18:19]
	s_branch .LBB45_4
.LBB45_3:                               ;   in Loop: Header=BB45_4 Depth=1
	s_or_b32 exec_lo, exec_lo, s10
	v_add_nc_u32_e32 v2, 1, v2
	v_add_nc_u64_e32 v[4:5], 8, v[4:5]
	v_add_nc_u64_e32 v[6:7], 4, v[6:7]
	s_delay_alu instid0(VALU_DEP_3) | instskip(SKIP_1) | instid1(SALU_CYCLE_1)
	v_cmp_ge_i32_e32 vcc_lo, v2, v10
	s_or_b32 s4, vcc_lo, s4
	s_and_not1_b32 exec_lo, exec_lo, s4
	s_cbranch_execz .LBB45_17
.LBB45_4:                               ; =>This Inner Loop Header: Depth=1
	global_load_b64 v[8:9], v[4:5], off
	s_and_b32 vcc_lo, exec_lo, s2
	s_mov_b32 s10, -1
                                        ; implicit-def: $sgpr5
	s_wait_loadcnt 0x0
	v_sub_nc_u64_e64 v[8:9], v[8:9], s[8:9]
	s_cbranch_vccz .LBB45_10
; %bb.5:                                ;   in Loop: Header=BB45_4 Depth=1
	s_and_b32 vcc_lo, exec_lo, s3
                                        ; implicit-def: $sgpr5
	s_cbranch_vccz .LBB45_7
; %bb.6:                                ;   in Loop: Header=BB45_4 Depth=1
	s_delay_alu instid0(VALU_DEP_1)
	v_cmp_ge_i64_e64 s5, v[8:9], v[0:1]
	s_mov_b32 s10, 0
.LBB45_7:                               ;   in Loop: Header=BB45_4 Depth=1
	s_delay_alu instid0(SALU_CYCLE_1)
	s_and_not1_b32 vcc_lo, exec_lo, s10
	s_cbranch_vccnz .LBB45_9
; %bb.8:                                ;   in Loop: Header=BB45_4 Depth=1
	s_delay_alu instid0(VALU_DEP_1) | instskip(SKIP_2) | instid1(SALU_CYCLE_1)
	v_cmp_gt_i64_e32 vcc_lo, v[8:9], v[0:1]
	s_and_not1_b32 s5, s5, exec_lo
	s_and_b32 s10, vcc_lo, exec_lo
	s_or_b32 s5, s5, s10
.LBB45_9:                               ;   in Loop: Header=BB45_4 Depth=1
	s_mov_b32 s10, 0
.LBB45_10:                              ;   in Loop: Header=BB45_4 Depth=1
	s_delay_alu instid0(SALU_CYCLE_1)
	s_and_not1_b32 vcc_lo, exec_lo, s10
	s_cbranch_vccnz .LBB45_15
; %bb.11:                               ;   in Loop: Header=BB45_4 Depth=1
	s_and_b32 vcc_lo, exec_lo, s3
	s_mov_b32 s10, -1
                                        ; implicit-def: $sgpr5
	s_cbranch_vccz .LBB45_13
; %bb.12:                               ;   in Loop: Header=BB45_4 Depth=1
	v_cmp_le_i64_e64 s5, v[8:9], v[0:1]
	s_mov_b32 s10, 0
.LBB45_13:                              ;   in Loop: Header=BB45_4 Depth=1
	s_delay_alu instid0(SALU_CYCLE_1)
	s_and_not1_b32 vcc_lo, exec_lo, s10
	s_cbranch_vccnz .LBB45_15
; %bb.14:                               ;   in Loop: Header=BB45_4 Depth=1
	v_cmp_lt_i64_e32 vcc_lo, v[8:9], v[0:1]
	s_and_not1_b32 s5, s5, exec_lo
	s_and_b32 s10, vcc_lo, exec_lo
	s_delay_alu instid0(SALU_CYCLE_1)
	s_or_b32 s5, s5, s10
.LBB45_15:                              ;   in Loop: Header=BB45_4 Depth=1
	s_wait_xcnt 0x0
	s_and_saveexec_b32 s10, s5
	s_cbranch_execz .LBB45_3
; %bb.16:                               ;   in Loop: Header=BB45_4 Depth=1
	global_load_b32 v3, v[6:7], off
	v_add_nc_u64_e32 v[8:9], s[0:1], v[8:9]
	v_add_nc_u32_e32 v12, 1, v11
	global_store_b64 v11, v[8:9], s[6:7] scale_offset
	s_wait_loadcnt 0x0
	global_store_b32 v11, v3, s[12:13] scale_offset
	s_wait_xcnt 0x0
	v_mov_b32_e32 v11, v12
	s_branch .LBB45_3
.LBB45_17:
	s_endpgm
	.section	.rodata,"a",@progbits
	.p2align	6, 0x0
	.amdhsa_kernel _ZN9rocsparseL28internal_extract_fill_kernelILj1024EjilEEvT2_PKT1_PKS1_PKT0_21rocsparse_index_base_b20rocsparse_diag_type_S4_PS1_PS7_SA_
		.amdhsa_group_segment_fixed_size 0
		.amdhsa_private_segment_fixed_size 0
		.amdhsa_kernarg_size 336
		.amdhsa_user_sgpr_count 2
		.amdhsa_user_sgpr_dispatch_ptr 0
		.amdhsa_user_sgpr_queue_ptr 0
		.amdhsa_user_sgpr_kernarg_segment_ptr 1
		.amdhsa_user_sgpr_dispatch_id 0
		.amdhsa_user_sgpr_kernarg_preload_length 0
		.amdhsa_user_sgpr_kernarg_preload_offset 0
		.amdhsa_user_sgpr_private_segment_size 0
		.amdhsa_wavefront_size32 1
		.amdhsa_uses_dynamic_stack 0
		.amdhsa_enable_private_segment 0
		.amdhsa_system_sgpr_workgroup_id_x 1
		.amdhsa_system_sgpr_workgroup_id_y 0
		.amdhsa_system_sgpr_workgroup_id_z 0
		.amdhsa_system_sgpr_workgroup_info 0
		.amdhsa_system_vgpr_workitem_id 0
		.amdhsa_next_free_vgpr 13
		.amdhsa_next_free_sgpr 20
		.amdhsa_named_barrier_count 0
		.amdhsa_reserve_vcc 1
		.amdhsa_float_round_mode_32 0
		.amdhsa_float_round_mode_16_64 0
		.amdhsa_float_denorm_mode_32 3
		.amdhsa_float_denorm_mode_16_64 3
		.amdhsa_fp16_overflow 0
		.amdhsa_memory_ordered 1
		.amdhsa_forward_progress 1
		.amdhsa_inst_pref_size 5
		.amdhsa_round_robin_scheduling 0
		.amdhsa_exception_fp_ieee_invalid_op 0
		.amdhsa_exception_fp_denorm_src 0
		.amdhsa_exception_fp_ieee_div_zero 0
		.amdhsa_exception_fp_ieee_overflow 0
		.amdhsa_exception_fp_ieee_underflow 0
		.amdhsa_exception_fp_ieee_inexact 0
		.amdhsa_exception_int_div_zero 0
	.end_amdhsa_kernel
	.section	.text._ZN9rocsparseL28internal_extract_fill_kernelILj1024EjilEEvT2_PKT1_PKS1_PKT0_21rocsparse_index_base_b20rocsparse_diag_type_S4_PS1_PS7_SA_,"axG",@progbits,_ZN9rocsparseL28internal_extract_fill_kernelILj1024EjilEEvT2_PKT1_PKS1_PKT0_21rocsparse_index_base_b20rocsparse_diag_type_S4_PS1_PS7_SA_,comdat
.Lfunc_end45:
	.size	_ZN9rocsparseL28internal_extract_fill_kernelILj1024EjilEEvT2_PKT1_PKS1_PKT0_21rocsparse_index_base_b20rocsparse_diag_type_S4_PS1_PS7_SA_, .Lfunc_end45-_ZN9rocsparseL28internal_extract_fill_kernelILj1024EjilEEvT2_PKT1_PKS1_PKT0_21rocsparse_index_base_b20rocsparse_diag_type_S4_PS1_PS7_SA_
                                        ; -- End function
	.set _ZN9rocsparseL28internal_extract_fill_kernelILj1024EjilEEvT2_PKT1_PKS1_PKT0_21rocsparse_index_base_b20rocsparse_diag_type_S4_PS1_PS7_SA_.num_vgpr, 13
	.set _ZN9rocsparseL28internal_extract_fill_kernelILj1024EjilEEvT2_PKT1_PKS1_PKT0_21rocsparse_index_base_b20rocsparse_diag_type_S4_PS1_PS7_SA_.num_agpr, 0
	.set _ZN9rocsparseL28internal_extract_fill_kernelILj1024EjilEEvT2_PKT1_PKS1_PKT0_21rocsparse_index_base_b20rocsparse_diag_type_S4_PS1_PS7_SA_.numbered_sgpr, 20
	.set _ZN9rocsparseL28internal_extract_fill_kernelILj1024EjilEEvT2_PKT1_PKS1_PKT0_21rocsparse_index_base_b20rocsparse_diag_type_S4_PS1_PS7_SA_.num_named_barrier, 0
	.set _ZN9rocsparseL28internal_extract_fill_kernelILj1024EjilEEvT2_PKT1_PKS1_PKT0_21rocsparse_index_base_b20rocsparse_diag_type_S4_PS1_PS7_SA_.private_seg_size, 0
	.set _ZN9rocsparseL28internal_extract_fill_kernelILj1024EjilEEvT2_PKT1_PKS1_PKT0_21rocsparse_index_base_b20rocsparse_diag_type_S4_PS1_PS7_SA_.uses_vcc, 1
	.set _ZN9rocsparseL28internal_extract_fill_kernelILj1024EjilEEvT2_PKT1_PKS1_PKT0_21rocsparse_index_base_b20rocsparse_diag_type_S4_PS1_PS7_SA_.uses_flat_scratch, 0
	.set _ZN9rocsparseL28internal_extract_fill_kernelILj1024EjilEEvT2_PKT1_PKS1_PKT0_21rocsparse_index_base_b20rocsparse_diag_type_S4_PS1_PS7_SA_.has_dyn_sized_stack, 0
	.set _ZN9rocsparseL28internal_extract_fill_kernelILj1024EjilEEvT2_PKT1_PKS1_PKT0_21rocsparse_index_base_b20rocsparse_diag_type_S4_PS1_PS7_SA_.has_recursion, 0
	.set _ZN9rocsparseL28internal_extract_fill_kernelILj1024EjilEEvT2_PKT1_PKS1_PKT0_21rocsparse_index_base_b20rocsparse_diag_type_S4_PS1_PS7_SA_.has_indirect_call, 0
	.section	.AMDGPU.csdata,"",@progbits
; Kernel info:
; codeLenInByte = 572
; TotalNumSgprs: 22
; NumVgprs: 13
; ScratchSize: 0
; MemoryBound: 0
; FloatMode: 240
; IeeeMode: 1
; LDSByteSize: 0 bytes/workgroup (compile time only)
; SGPRBlocks: 0
; VGPRBlocks: 0
; NumSGPRsForWavesPerEU: 22
; NumVGPRsForWavesPerEU: 13
; NamedBarCnt: 0
; Occupancy: 16
; WaveLimiterHint : 0
; COMPUTE_PGM_RSRC2:SCRATCH_EN: 0
; COMPUTE_PGM_RSRC2:USER_SGPR: 2
; COMPUTE_PGM_RSRC2:TRAP_HANDLER: 0
; COMPUTE_PGM_RSRC2:TGID_X_EN: 1
; COMPUTE_PGM_RSRC2:TGID_Y_EN: 0
; COMPUTE_PGM_RSRC2:TGID_Z_EN: 0
; COMPUTE_PGM_RSRC2:TIDIG_COMP_CNT: 0
	.section	.text._ZN9rocsparseL28internal_extract_fill_kernelILj1024EjliEEvT2_PKT1_PKS1_PKT0_21rocsparse_index_base_b20rocsparse_diag_type_S4_PS1_PS7_SA_,"axG",@progbits,_ZN9rocsparseL28internal_extract_fill_kernelILj1024EjliEEvT2_PKT1_PKS1_PKT0_21rocsparse_index_base_b20rocsparse_diag_type_S4_PS1_PS7_SA_,comdat
	.globl	_ZN9rocsparseL28internal_extract_fill_kernelILj1024EjliEEvT2_PKT1_PKS1_PKT0_21rocsparse_index_base_b20rocsparse_diag_type_S4_PS1_PS7_SA_ ; -- Begin function _ZN9rocsparseL28internal_extract_fill_kernelILj1024EjliEEvT2_PKT1_PKS1_PKT0_21rocsparse_index_base_b20rocsparse_diag_type_S4_PS1_PS7_SA_
	.p2align	8
	.type	_ZN9rocsparseL28internal_extract_fill_kernelILj1024EjliEEvT2_PKT1_PKS1_PKT0_21rocsparse_index_base_b20rocsparse_diag_type_S4_PS1_PS7_SA_,@function
_ZN9rocsparseL28internal_extract_fill_kernelILj1024EjliEEvT2_PKT1_PKS1_PKT0_21rocsparse_index_base_b20rocsparse_diag_type_S4_PS1_PS7_SA_: ; @_ZN9rocsparseL28internal_extract_fill_kernelILj1024EjliEEvT2_PKT1_PKS1_PKT0_21rocsparse_index_base_b20rocsparse_diag_type_S4_PS1_PS7_SA_
; %bb.0:
	s_clause 0x1
	s_load_b32 s2, s[0:1], 0x0
	s_load_b32 s4, s[0:1], 0x5c
	s_bfe_u32 s3, ttmp6, 0x4000c
	s_and_b32 s5, ttmp6, 15
	s_add_co_i32 s3, s3, 1
	s_getreg_b32 s6, hwreg(HW_REG_IB_STS2, 6, 4)
	s_mul_i32 s7, ttmp9, s3
	v_mov_b32_e32 v5, 0
	s_add_co_i32 s5, s5, s7
	s_wait_kmcnt 0x0
	s_ashr_i32 s3, s2, 31
	s_and_b32 s4, s4, 0xffff
	s_cmp_eq_u32 s6, 0
	s_cselect_b32 s5, ttmp9, s5
	s_delay_alu instid0(SALU_CYCLE_1) | instskip(NEXT) | instid1(VALU_DEP_1)
	v_mad_u32 v4, s5, s4, v0
	v_cmp_gt_i64_e32 vcc_lo, s[2:3], v[4:5]
	s_and_saveexec_b32 s2, vcc_lo
	s_cbranch_execz .LBB46_17
; %bb.1:
	s_load_b64 s[2:3], s[0:1], 0x8
	s_wait_kmcnt 0x0
	v_lshl_add_u64 v[0:1], v[4:5], 3, s[2:3]
	global_load_b128 v[0:3], v[0:1], off
	s_wait_loadcnt 0x0
	v_cmp_lt_i64_e32 vcc_lo, v[0:1], v[2:3]
	s_and_b32 exec_lo, exec_lo, vcc_lo
	s_cbranch_execz .LBB46_17
; %bb.2:
	s_load_b128 s[4:7], s[0:1], 0x30
	s_wait_kmcnt 0x0
	v_lshl_add_u64 v[6:7], v[4:5], 3, s[4:5]
	global_load_b64 v[8:9], v[6:7], off
	s_clause 0x2
	s_load_b96 s[8:10], s[0:1], 0x20
	s_load_b96 s[12:14], s[0:1], 0x40
	s_load_b128 s[16:19], s[0:1], 0x10
	v_lshlrev_b64_e32 v[6:7], 2, v[0:1]
	s_wait_xcnt 0x0
	s_mov_b32 s1, 0
	s_wait_kmcnt 0x0
	s_bitcmp1_b32 s9, 0
	s_cselect_b32 s0, -1, 0
	s_delay_alu instid0(SALU_CYCLE_1)
	s_xor_b32 s2, s0, -1
	s_cmp_lg_u32 s10, 1
	s_mov_b32 s0, s8
	s_cselect_b32 s3, -1, 0
	s_lshl_b64 s[4:5], s[0:1], 2
	v_sub_nc_u64_e64 v[2:3], v[2:3], s[0:1]
	v_sub_nc_u64_e64 v[12:13], v[6:7], s[4:5]
	s_mov_b32 s5, s1
	s_mov_b32 s4, s14
	v_sub_nc_u64_e64 v[0:1], v[0:1], s[0:1]
	s_delay_alu instid0(VALU_DEP_2)
	v_add_nc_u64_e32 v[6:7], s[18:19], v[12:13]
	s_wait_loadcnt 0x0
	v_sub_nc_u64_e64 v[10:11], v[8:9], s[4:5]
	v_add_nc_u64_e32 v[8:9], s[16:17], v[12:13]
	s_branch .LBB46_4
.LBB46_3:                               ;   in Loop: Header=BB46_4 Depth=1
	s_wait_xcnt 0x0
	s_or_b32 exec_lo, exec_lo, s4
	v_add_nc_u64_e32 v[0:1], 1, v[0:1]
	v_add_nc_u64_e32 v[6:7], 4, v[6:7]
	;; [unrolled: 1-line block ×3, first 2 shown]
	s_delay_alu instid0(VALU_DEP_3) | instskip(SKIP_1) | instid1(SALU_CYCLE_1)
	v_cmp_ge_i64_e32 vcc_lo, v[0:1], v[2:3]
	s_or_b32 s1, vcc_lo, s1
	s_and_not1_b32 exec_lo, exec_lo, s1
	s_cbranch_execz .LBB46_17
.LBB46_4:                               ; =>This Inner Loop Header: Depth=1
	global_load_b32 v5, v[8:9], off
	s_and_b32 vcc_lo, exec_lo, s2
	s_mov_b32 s4, -1
                                        ; implicit-def: $sgpr0
	s_wait_loadcnt 0x0
	v_subrev_nc_u32_e32 v5, s8, v5
	s_cbranch_vccz .LBB46_10
; %bb.5:                                ;   in Loop: Header=BB46_4 Depth=1
	s_and_b32 vcc_lo, exec_lo, s3
                                        ; implicit-def: $sgpr0
	s_cbranch_vccz .LBB46_7
; %bb.6:                                ;   in Loop: Header=BB46_4 Depth=1
	s_delay_alu instid0(VALU_DEP_1)
	v_cmp_le_i32_e64 s0, v4, v5
	s_mov_b32 s4, 0
.LBB46_7:                               ;   in Loop: Header=BB46_4 Depth=1
	s_delay_alu instid0(SALU_CYCLE_1)
	s_and_not1_b32 vcc_lo, exec_lo, s4
	s_cbranch_vccnz .LBB46_9
; %bb.8:                                ;   in Loop: Header=BB46_4 Depth=1
	v_cmp_lt_i32_e32 vcc_lo, v4, v5
	s_and_not1_b32 s0, s0, exec_lo
	s_and_b32 s4, vcc_lo, exec_lo
	s_delay_alu instid0(SALU_CYCLE_1)
	s_or_b32 s0, s0, s4
.LBB46_9:                               ;   in Loop: Header=BB46_4 Depth=1
	s_mov_b32 s4, 0
.LBB46_10:                              ;   in Loop: Header=BB46_4 Depth=1
	s_delay_alu instid0(SALU_CYCLE_1)
	s_and_not1_b32 vcc_lo, exec_lo, s4
	s_cbranch_vccnz .LBB46_15
; %bb.11:                               ;   in Loop: Header=BB46_4 Depth=1
	s_and_b32 vcc_lo, exec_lo, s3
	s_mov_b32 s4, -1
                                        ; implicit-def: $sgpr0
	s_cbranch_vccz .LBB46_13
; %bb.12:                               ;   in Loop: Header=BB46_4 Depth=1
	v_cmp_ge_i32_e64 s0, v4, v5
	s_mov_b32 s4, 0
.LBB46_13:                              ;   in Loop: Header=BB46_4 Depth=1
	s_delay_alu instid0(SALU_CYCLE_1)
	s_and_not1_b32 vcc_lo, exec_lo, s4
	s_cbranch_vccnz .LBB46_15
; %bb.14:                               ;   in Loop: Header=BB46_4 Depth=1
	v_cmp_gt_i32_e32 vcc_lo, v4, v5
	s_and_not1_b32 s0, s0, exec_lo
	s_and_b32 s4, vcc_lo, exec_lo
	s_delay_alu instid0(SALU_CYCLE_1)
	s_or_b32 s0, s0, s4
.LBB46_15:                              ;   in Loop: Header=BB46_4 Depth=1
	s_wait_xcnt 0x0
	s_and_saveexec_b32 s4, s0
	s_cbranch_execz .LBB46_3
; %bb.16:                               ;   in Loop: Header=BB46_4 Depth=1
	global_load_b32 v16, v[6:7], off
	v_lshlrev_b64_e32 v[12:13], 2, v[10:11]
	v_add_nc_u64_e32 v[10:11], 1, v[10:11]
	v_add_nc_u32_e32 v5, s14, v5
	s_delay_alu instid0(VALU_DEP_3)
	v_add_nc_u64_e32 v[14:15], s[6:7], v[12:13]
	v_add_nc_u64_e32 v[12:13], s[12:13], v[12:13]
	global_store_b32 v[14:15], v5, off
	s_wait_loadcnt 0x0
	global_store_b32 v[12:13], v16, off
	s_branch .LBB46_3
.LBB46_17:
	s_endpgm
	.section	.rodata,"a",@progbits
	.p2align	6, 0x0
	.amdhsa_kernel _ZN9rocsparseL28internal_extract_fill_kernelILj1024EjliEEvT2_PKT1_PKS1_PKT0_21rocsparse_index_base_b20rocsparse_diag_type_S4_PS1_PS7_SA_
		.amdhsa_group_segment_fixed_size 0
		.amdhsa_private_segment_fixed_size 0
		.amdhsa_kernarg_size 336
		.amdhsa_user_sgpr_count 2
		.amdhsa_user_sgpr_dispatch_ptr 0
		.amdhsa_user_sgpr_queue_ptr 0
		.amdhsa_user_sgpr_kernarg_segment_ptr 1
		.amdhsa_user_sgpr_dispatch_id 0
		.amdhsa_user_sgpr_kernarg_preload_length 0
		.amdhsa_user_sgpr_kernarg_preload_offset 0
		.amdhsa_user_sgpr_private_segment_size 0
		.amdhsa_wavefront_size32 1
		.amdhsa_uses_dynamic_stack 0
		.amdhsa_enable_private_segment 0
		.amdhsa_system_sgpr_workgroup_id_x 1
		.amdhsa_system_sgpr_workgroup_id_y 0
		.amdhsa_system_sgpr_workgroup_id_z 0
		.amdhsa_system_sgpr_workgroup_info 0
		.amdhsa_system_vgpr_workitem_id 0
		.amdhsa_next_free_vgpr 17
		.amdhsa_next_free_sgpr 20
		.amdhsa_named_barrier_count 0
		.amdhsa_reserve_vcc 1
		.amdhsa_float_round_mode_32 0
		.amdhsa_float_round_mode_16_64 0
		.amdhsa_float_denorm_mode_32 3
		.amdhsa_float_denorm_mode_16_64 3
		.amdhsa_fp16_overflow 0
		.amdhsa_memory_ordered 1
		.amdhsa_forward_progress 1
		.amdhsa_inst_pref_size 5
		.amdhsa_round_robin_scheduling 0
		.amdhsa_exception_fp_ieee_invalid_op 0
		.amdhsa_exception_fp_denorm_src 0
		.amdhsa_exception_fp_ieee_div_zero 0
		.amdhsa_exception_fp_ieee_overflow 0
		.amdhsa_exception_fp_ieee_underflow 0
		.amdhsa_exception_fp_ieee_inexact 0
		.amdhsa_exception_int_div_zero 0
	.end_amdhsa_kernel
	.section	.text._ZN9rocsparseL28internal_extract_fill_kernelILj1024EjliEEvT2_PKT1_PKS1_PKT0_21rocsparse_index_base_b20rocsparse_diag_type_S4_PS1_PS7_SA_,"axG",@progbits,_ZN9rocsparseL28internal_extract_fill_kernelILj1024EjliEEvT2_PKT1_PKS1_PKT0_21rocsparse_index_base_b20rocsparse_diag_type_S4_PS1_PS7_SA_,comdat
.Lfunc_end46:
	.size	_ZN9rocsparseL28internal_extract_fill_kernelILj1024EjliEEvT2_PKT1_PKS1_PKT0_21rocsparse_index_base_b20rocsparse_diag_type_S4_PS1_PS7_SA_, .Lfunc_end46-_ZN9rocsparseL28internal_extract_fill_kernelILj1024EjliEEvT2_PKT1_PKS1_PKT0_21rocsparse_index_base_b20rocsparse_diag_type_S4_PS1_PS7_SA_
                                        ; -- End function
	.set _ZN9rocsparseL28internal_extract_fill_kernelILj1024EjliEEvT2_PKT1_PKS1_PKT0_21rocsparse_index_base_b20rocsparse_diag_type_S4_PS1_PS7_SA_.num_vgpr, 17
	.set _ZN9rocsparseL28internal_extract_fill_kernelILj1024EjliEEvT2_PKT1_PKS1_PKT0_21rocsparse_index_base_b20rocsparse_diag_type_S4_PS1_PS7_SA_.num_agpr, 0
	.set _ZN9rocsparseL28internal_extract_fill_kernelILj1024EjliEEvT2_PKT1_PKS1_PKT0_21rocsparse_index_base_b20rocsparse_diag_type_S4_PS1_PS7_SA_.numbered_sgpr, 20
	.set _ZN9rocsparseL28internal_extract_fill_kernelILj1024EjliEEvT2_PKT1_PKS1_PKT0_21rocsparse_index_base_b20rocsparse_diag_type_S4_PS1_PS7_SA_.num_named_barrier, 0
	.set _ZN9rocsparseL28internal_extract_fill_kernelILj1024EjliEEvT2_PKT1_PKS1_PKT0_21rocsparse_index_base_b20rocsparse_diag_type_S4_PS1_PS7_SA_.private_seg_size, 0
	.set _ZN9rocsparseL28internal_extract_fill_kernelILj1024EjliEEvT2_PKT1_PKS1_PKT0_21rocsparse_index_base_b20rocsparse_diag_type_S4_PS1_PS7_SA_.uses_vcc, 1
	.set _ZN9rocsparseL28internal_extract_fill_kernelILj1024EjliEEvT2_PKT1_PKS1_PKT0_21rocsparse_index_base_b20rocsparse_diag_type_S4_PS1_PS7_SA_.uses_flat_scratch, 0
	.set _ZN9rocsparseL28internal_extract_fill_kernelILj1024EjliEEvT2_PKT1_PKS1_PKT0_21rocsparse_index_base_b20rocsparse_diag_type_S4_PS1_PS7_SA_.has_dyn_sized_stack, 0
	.set _ZN9rocsparseL28internal_extract_fill_kernelILj1024EjliEEvT2_PKT1_PKS1_PKT0_21rocsparse_index_base_b20rocsparse_diag_type_S4_PS1_PS7_SA_.has_recursion, 0
	.set _ZN9rocsparseL28internal_extract_fill_kernelILj1024EjliEEvT2_PKT1_PKS1_PKT0_21rocsparse_index_base_b20rocsparse_diag_type_S4_PS1_PS7_SA_.has_indirect_call, 0
	.section	.AMDGPU.csdata,"",@progbits
; Kernel info:
; codeLenInByte = 600
; TotalNumSgprs: 22
; NumVgprs: 17
; ScratchSize: 0
; MemoryBound: 0
; FloatMode: 240
; IeeeMode: 1
; LDSByteSize: 0 bytes/workgroup (compile time only)
; SGPRBlocks: 0
; VGPRBlocks: 1
; NumSGPRsForWavesPerEU: 22
; NumVGPRsForWavesPerEU: 17
; NamedBarCnt: 0
; Occupancy: 16
; WaveLimiterHint : 0
; COMPUTE_PGM_RSRC2:SCRATCH_EN: 0
; COMPUTE_PGM_RSRC2:USER_SGPR: 2
; COMPUTE_PGM_RSRC2:TRAP_HANDLER: 0
; COMPUTE_PGM_RSRC2:TGID_X_EN: 1
; COMPUTE_PGM_RSRC2:TGID_Y_EN: 0
; COMPUTE_PGM_RSRC2:TGID_Z_EN: 0
; COMPUTE_PGM_RSRC2:TIDIG_COMP_CNT: 0
	.section	.text._ZN9rocsparseL28internal_extract_fill_kernelILj1024EjllEEvT2_PKT1_PKS1_PKT0_21rocsparse_index_base_b20rocsparse_diag_type_S4_PS1_PS7_SA_,"axG",@progbits,_ZN9rocsparseL28internal_extract_fill_kernelILj1024EjllEEvT2_PKT1_PKS1_PKT0_21rocsparse_index_base_b20rocsparse_diag_type_S4_PS1_PS7_SA_,comdat
	.globl	_ZN9rocsparseL28internal_extract_fill_kernelILj1024EjllEEvT2_PKT1_PKS1_PKT0_21rocsparse_index_base_b20rocsparse_diag_type_S4_PS1_PS7_SA_ ; -- Begin function _ZN9rocsparseL28internal_extract_fill_kernelILj1024EjllEEvT2_PKT1_PKS1_PKT0_21rocsparse_index_base_b20rocsparse_diag_type_S4_PS1_PS7_SA_
	.p2align	8
	.type	_ZN9rocsparseL28internal_extract_fill_kernelILj1024EjllEEvT2_PKT1_PKS1_PKT0_21rocsparse_index_base_b20rocsparse_diag_type_S4_PS1_PS7_SA_,@function
_ZN9rocsparseL28internal_extract_fill_kernelILj1024EjllEEvT2_PKT1_PKS1_PKT0_21rocsparse_index_base_b20rocsparse_diag_type_S4_PS1_PS7_SA_: ; @_ZN9rocsparseL28internal_extract_fill_kernelILj1024EjllEEvT2_PKT1_PKS1_PKT0_21rocsparse_index_base_b20rocsparse_diag_type_S4_PS1_PS7_SA_
; %bb.0:
	s_clause 0x1
	s_load_b32 s4, s[0:1], 0x5c
	s_load_b64 s[2:3], s[0:1], 0x0
	s_bfe_u32 s5, ttmp6, 0x4000c
	s_and_b32 s6, ttmp6, 15
	s_add_co_i32 s5, s5, 1
	s_getreg_b32 s7, hwreg(HW_REG_IB_STS2, 6, 4)
	s_mul_i32 s5, ttmp9, s5
	v_mov_b32_e32 v5, 0
	s_add_co_i32 s6, s6, s5
	s_wait_kmcnt 0x0
	s_and_b32 s4, s4, 0xffff
	s_cmp_eq_u32 s7, 0
	s_cselect_b32 s5, ttmp9, s6
	s_delay_alu instid0(SALU_CYCLE_1) | instskip(NEXT) | instid1(VALU_DEP_1)
	v_mad_u32 v4, s5, s4, v0
	v_cmp_gt_i64_e32 vcc_lo, s[2:3], v[4:5]
	s_and_saveexec_b32 s2, vcc_lo
	s_cbranch_execz .LBB47_17
; %bb.1:
	s_load_b64 s[2:3], s[0:1], 0x8
	s_wait_kmcnt 0x0
	v_lshl_add_u64 v[0:1], v[4:5], 3, s[2:3]
	global_load_b128 v[0:3], v[0:1], off
	s_wait_loadcnt 0x0
	v_cmp_lt_i64_e32 vcc_lo, v[0:1], v[2:3]
	s_and_b32 exec_lo, exec_lo, vcc_lo
	s_cbranch_execz .LBB47_17
; %bb.2:
	s_load_b128 s[4:7], s[0:1], 0x30
	v_lshlrev_b64_e32 v[10:11], 3, v[0:1]
	s_wait_kmcnt 0x0
	v_lshl_add_u64 v[6:7], v[4:5], 3, s[4:5]
	global_load_b64 v[8:9], v[6:7], off
	s_clause 0x2
	s_load_b96 s[16:18], s[0:1], 0x20
	s_load_b96 s[8:10], s[0:1], 0x40
	s_load_b128 s[12:15], s[0:1], 0x10
	v_lshlrev_b64_e32 v[6:7], 2, v[0:1]
	s_wait_xcnt 0x0
	s_mov_b32 s1, 0
	s_delay_alu instid0(SALU_CYCLE_1)
	s_mov_b32 s3, s1
	s_wait_kmcnt 0x0
	s_bitcmp1_b32 s17, 0
	s_mov_b32 s2, s16
	s_cselect_b32 s0, -1, 0
	v_sub_nc_u64_e64 v[2:3], v[2:3], s[2:3]
	s_xor_b32 s4, s0, -1
	s_cmp_lg_u32 s18, 1
	s_mov_b32 s0, s10
	s_cselect_b32 s5, -1, 0
	s_lshl_b64 s[16:17], s[2:3], 2
	s_lshl_b64 s[18:19], s[2:3], 3
	v_sub_nc_u64_e64 v[6:7], v[6:7], s[16:17]
	v_sub_nc_u64_e64 v[12:13], v[10:11], s[18:19]
	;; [unrolled: 1-line block ×3, first 2 shown]
	s_mov_b32 s10, s1
	s_delay_alu instid0(VALU_DEP_3) | instskip(SKIP_2) | instid1(VALU_DEP_4)
	v_add_nc_u64_e32 v[6:7], s[14:15], v[6:7]
	s_wait_loadcnt 0x0
	v_sub_nc_u64_e64 v[10:11], v[8:9], s[0:1]
	v_add_nc_u64_e32 v[8:9], s[12:13], v[12:13]
	s_branch .LBB47_4
.LBB47_3:                               ;   in Loop: Header=BB47_4 Depth=1
	s_wait_xcnt 0x0
	s_or_b32 exec_lo, exec_lo, s12
	v_add_nc_u64_e32 v[0:1], 1, v[0:1]
	v_add_nc_u64_e32 v[6:7], 4, v[6:7]
	;; [unrolled: 1-line block ×3, first 2 shown]
	s_delay_alu instid0(VALU_DEP_3) | instskip(SKIP_1) | instid1(SALU_CYCLE_1)
	v_cmp_ge_i64_e32 vcc_lo, v[0:1], v[2:3]
	s_or_b32 s10, vcc_lo, s10
	s_and_not1_b32 exec_lo, exec_lo, s10
	s_cbranch_execz .LBB47_17
.LBB47_4:                               ; =>This Inner Loop Header: Depth=1
	global_load_b64 v[12:13], v[8:9], off
	s_and_b32 vcc_lo, exec_lo, s4
	s_mov_b32 s12, -1
                                        ; implicit-def: $sgpr11
	s_wait_loadcnt 0x0
	v_sub_nc_u64_e64 v[12:13], v[12:13], s[2:3]
	s_cbranch_vccz .LBB47_10
; %bb.5:                                ;   in Loop: Header=BB47_4 Depth=1
	s_and_b32 vcc_lo, exec_lo, s5
                                        ; implicit-def: $sgpr11
	s_cbranch_vccz .LBB47_7
; %bb.6:                                ;   in Loop: Header=BB47_4 Depth=1
	s_delay_alu instid0(VALU_DEP_1)
	v_cmp_ge_i64_e64 s11, v[12:13], v[4:5]
	s_mov_b32 s12, 0
.LBB47_7:                               ;   in Loop: Header=BB47_4 Depth=1
	s_delay_alu instid0(SALU_CYCLE_1)
	s_and_not1_b32 vcc_lo, exec_lo, s12
	s_cbranch_vccnz .LBB47_9
; %bb.8:                                ;   in Loop: Header=BB47_4 Depth=1
	s_delay_alu instid0(VALU_DEP_1) | instskip(SKIP_2) | instid1(SALU_CYCLE_1)
	v_cmp_gt_i64_e32 vcc_lo, v[12:13], v[4:5]
	s_and_not1_b32 s11, s11, exec_lo
	s_and_b32 s12, vcc_lo, exec_lo
	s_or_b32 s11, s11, s12
.LBB47_9:                               ;   in Loop: Header=BB47_4 Depth=1
	s_mov_b32 s12, 0
.LBB47_10:                              ;   in Loop: Header=BB47_4 Depth=1
	s_delay_alu instid0(SALU_CYCLE_1)
	s_and_not1_b32 vcc_lo, exec_lo, s12
	s_cbranch_vccnz .LBB47_15
; %bb.11:                               ;   in Loop: Header=BB47_4 Depth=1
	s_and_b32 vcc_lo, exec_lo, s5
	s_mov_b32 s12, -1
                                        ; implicit-def: $sgpr11
	s_cbranch_vccz .LBB47_13
; %bb.12:                               ;   in Loop: Header=BB47_4 Depth=1
	v_cmp_le_i64_e64 s11, v[12:13], v[4:5]
	s_mov_b32 s12, 0
.LBB47_13:                              ;   in Loop: Header=BB47_4 Depth=1
	s_delay_alu instid0(SALU_CYCLE_1)
	s_and_not1_b32 vcc_lo, exec_lo, s12
	s_cbranch_vccnz .LBB47_15
; %bb.14:                               ;   in Loop: Header=BB47_4 Depth=1
	v_cmp_lt_i64_e32 vcc_lo, v[12:13], v[4:5]
	s_and_not1_b32 s11, s11, exec_lo
	s_and_b32 s12, vcc_lo, exec_lo
	s_delay_alu instid0(SALU_CYCLE_1)
	s_or_b32 s11, s11, s12
.LBB47_15:                              ;   in Loop: Header=BB47_4 Depth=1
	s_wait_xcnt 0x0
	s_and_saveexec_b32 s12, s11
	s_cbranch_execz .LBB47_3
; %bb.16:                               ;   in Loop: Header=BB47_4 Depth=1
	global_load_b32 v20, v[6:7], off
	v_add_nc_u64_e32 v[14:15], 1, v[10:11]
	v_add_nc_u64_e32 v[12:13], s[0:1], v[12:13]
	v_lshl_add_u64 v[16:17], v[10:11], 3, s[6:7]
	v_lshl_add_u64 v[18:19], v[10:11], 2, s[8:9]
	global_store_b64 v[16:17], v[12:13], off
	s_wait_loadcnt 0x0
	global_store_b32 v[18:19], v20, off
	v_mov_b64_e32 v[10:11], v[14:15]
	s_branch .LBB47_3
.LBB47_17:
	s_endpgm
	.section	.rodata,"a",@progbits
	.p2align	6, 0x0
	.amdhsa_kernel _ZN9rocsparseL28internal_extract_fill_kernelILj1024EjllEEvT2_PKT1_PKS1_PKT0_21rocsparse_index_base_b20rocsparse_diag_type_S4_PS1_PS7_SA_
		.amdhsa_group_segment_fixed_size 0
		.amdhsa_private_segment_fixed_size 0
		.amdhsa_kernarg_size 336
		.amdhsa_user_sgpr_count 2
		.amdhsa_user_sgpr_dispatch_ptr 0
		.amdhsa_user_sgpr_queue_ptr 0
		.amdhsa_user_sgpr_kernarg_segment_ptr 1
		.amdhsa_user_sgpr_dispatch_id 0
		.amdhsa_user_sgpr_kernarg_preload_length 0
		.amdhsa_user_sgpr_kernarg_preload_offset 0
		.amdhsa_user_sgpr_private_segment_size 0
		.amdhsa_wavefront_size32 1
		.amdhsa_uses_dynamic_stack 0
		.amdhsa_enable_private_segment 0
		.amdhsa_system_sgpr_workgroup_id_x 1
		.amdhsa_system_sgpr_workgroup_id_y 0
		.amdhsa_system_sgpr_workgroup_id_z 0
		.amdhsa_system_sgpr_workgroup_info 0
		.amdhsa_system_vgpr_workitem_id 0
		.amdhsa_next_free_vgpr 21
		.amdhsa_next_free_sgpr 20
		.amdhsa_named_barrier_count 0
		.amdhsa_reserve_vcc 1
		.amdhsa_float_round_mode_32 0
		.amdhsa_float_round_mode_16_64 0
		.amdhsa_float_denorm_mode_32 3
		.amdhsa_float_denorm_mode_16_64 3
		.amdhsa_fp16_overflow 0
		.amdhsa_memory_ordered 1
		.amdhsa_forward_progress 1
		.amdhsa_inst_pref_size 5
		.amdhsa_round_robin_scheduling 0
		.amdhsa_exception_fp_ieee_invalid_op 0
		.amdhsa_exception_fp_denorm_src 0
		.amdhsa_exception_fp_ieee_div_zero 0
		.amdhsa_exception_fp_ieee_overflow 0
		.amdhsa_exception_fp_ieee_underflow 0
		.amdhsa_exception_fp_ieee_inexact 0
		.amdhsa_exception_int_div_zero 0
	.end_amdhsa_kernel
	.section	.text._ZN9rocsparseL28internal_extract_fill_kernelILj1024EjllEEvT2_PKT1_PKS1_PKT0_21rocsparse_index_base_b20rocsparse_diag_type_S4_PS1_PS7_SA_,"axG",@progbits,_ZN9rocsparseL28internal_extract_fill_kernelILj1024EjllEEvT2_PKT1_PKS1_PKT0_21rocsparse_index_base_b20rocsparse_diag_type_S4_PS1_PS7_SA_,comdat
.Lfunc_end47:
	.size	_ZN9rocsparseL28internal_extract_fill_kernelILj1024EjllEEvT2_PKT1_PKS1_PKT0_21rocsparse_index_base_b20rocsparse_diag_type_S4_PS1_PS7_SA_, .Lfunc_end47-_ZN9rocsparseL28internal_extract_fill_kernelILj1024EjllEEvT2_PKT1_PKS1_PKT0_21rocsparse_index_base_b20rocsparse_diag_type_S4_PS1_PS7_SA_
                                        ; -- End function
	.set _ZN9rocsparseL28internal_extract_fill_kernelILj1024EjllEEvT2_PKT1_PKS1_PKT0_21rocsparse_index_base_b20rocsparse_diag_type_S4_PS1_PS7_SA_.num_vgpr, 21
	.set _ZN9rocsparseL28internal_extract_fill_kernelILj1024EjllEEvT2_PKT1_PKS1_PKT0_21rocsparse_index_base_b20rocsparse_diag_type_S4_PS1_PS7_SA_.num_agpr, 0
	.set _ZN9rocsparseL28internal_extract_fill_kernelILj1024EjllEEvT2_PKT1_PKS1_PKT0_21rocsparse_index_base_b20rocsparse_diag_type_S4_PS1_PS7_SA_.numbered_sgpr, 20
	.set _ZN9rocsparseL28internal_extract_fill_kernelILj1024EjllEEvT2_PKT1_PKS1_PKT0_21rocsparse_index_base_b20rocsparse_diag_type_S4_PS1_PS7_SA_.num_named_barrier, 0
	.set _ZN9rocsparseL28internal_extract_fill_kernelILj1024EjllEEvT2_PKT1_PKS1_PKT0_21rocsparse_index_base_b20rocsparse_diag_type_S4_PS1_PS7_SA_.private_seg_size, 0
	.set _ZN9rocsparseL28internal_extract_fill_kernelILj1024EjllEEvT2_PKT1_PKS1_PKT0_21rocsparse_index_base_b20rocsparse_diag_type_S4_PS1_PS7_SA_.uses_vcc, 1
	.set _ZN9rocsparseL28internal_extract_fill_kernelILj1024EjllEEvT2_PKT1_PKS1_PKT0_21rocsparse_index_base_b20rocsparse_diag_type_S4_PS1_PS7_SA_.uses_flat_scratch, 0
	.set _ZN9rocsparseL28internal_extract_fill_kernelILj1024EjllEEvT2_PKT1_PKS1_PKT0_21rocsparse_index_base_b20rocsparse_diag_type_S4_PS1_PS7_SA_.has_dyn_sized_stack, 0
	.set _ZN9rocsparseL28internal_extract_fill_kernelILj1024EjllEEvT2_PKT1_PKS1_PKT0_21rocsparse_index_base_b20rocsparse_diag_type_S4_PS1_PS7_SA_.has_recursion, 0
	.set _ZN9rocsparseL28internal_extract_fill_kernelILj1024EjllEEvT2_PKT1_PKS1_PKT0_21rocsparse_index_base_b20rocsparse_diag_type_S4_PS1_PS7_SA_.has_indirect_call, 0
	.section	.AMDGPU.csdata,"",@progbits
; Kernel info:
; codeLenInByte = 624
; TotalNumSgprs: 22
; NumVgprs: 21
; ScratchSize: 0
; MemoryBound: 0
; FloatMode: 240
; IeeeMode: 1
; LDSByteSize: 0 bytes/workgroup (compile time only)
; SGPRBlocks: 0
; VGPRBlocks: 1
; NumSGPRsForWavesPerEU: 22
; NumVGPRsForWavesPerEU: 21
; NamedBarCnt: 0
; Occupancy: 16
; WaveLimiterHint : 0
; COMPUTE_PGM_RSRC2:SCRATCH_EN: 0
; COMPUTE_PGM_RSRC2:USER_SGPR: 2
; COMPUTE_PGM_RSRC2:TRAP_HANDLER: 0
; COMPUTE_PGM_RSRC2:TGID_X_EN: 1
; COMPUTE_PGM_RSRC2:TGID_Y_EN: 0
; COMPUTE_PGM_RSRC2:TGID_Z_EN: 0
; COMPUTE_PGM_RSRC2:TIDIG_COMP_CNT: 0
	.section	.AMDGPU.gpr_maximums,"",@progbits
	.set amdgpu.max_num_vgpr, 0
	.set amdgpu.max_num_agpr, 0
	.set amdgpu.max_num_sgpr, 0
	.section	.AMDGPU.csdata,"",@progbits
	.type	__hip_cuid_7faee1fc257555ba,@object ; @__hip_cuid_7faee1fc257555ba
	.section	.bss,"aw",@nobits
	.globl	__hip_cuid_7faee1fc257555ba
__hip_cuid_7faee1fc257555ba:
	.byte	0                               ; 0x0
	.size	__hip_cuid_7faee1fc257555ba, 1

	.ident	"AMD clang version 22.0.0git (https://github.com/RadeonOpenCompute/llvm-project roc-7.2.4 26084 f58b06dce1f9c15707c5f808fd002e18c2accf7e)"
	.section	".note.GNU-stack","",@progbits
	.addrsig
	.addrsig_sym __hip_cuid_7faee1fc257555ba
	.amdgpu_metadata
---
amdhsa.kernels:
  - .args:
      - .offset:         0
        .size:           4
        .value_kind:     by_value
      - .actual_access:  read_only
        .address_space:  global
        .offset:         8
        .size:           8
        .value_kind:     global_buffer
      - .actual_access:  read_only
        .address_space:  global
        .offset:         16
        .size:           8
        .value_kind:     global_buffer
      - .offset:         24
        .size:           4
        .value_kind:     by_value
      - .offset:         28
        .size:           1
        .value_kind:     by_value
      - .offset:         32
        .size:           4
        .value_kind:     by_value
      - .actual_access:  write_only
        .address_space:  global
        .offset:         40
        .size:           8
        .value_kind:     global_buffer
      - .offset:         48
        .size:           4
        .value_kind:     hidden_block_count_x
      - .offset:         52
        .size:           4
        .value_kind:     hidden_block_count_y
      - .offset:         56
        .size:           4
        .value_kind:     hidden_block_count_z
      - .offset:         60
        .size:           2
        .value_kind:     hidden_group_size_x
      - .offset:         62
        .size:           2
        .value_kind:     hidden_group_size_y
      - .offset:         64
        .size:           2
        .value_kind:     hidden_group_size_z
      - .offset:         66
        .size:           2
        .value_kind:     hidden_remainder_x
      - .offset:         68
        .size:           2
        .value_kind:     hidden_remainder_y
      - .offset:         70
        .size:           2
        .value_kind:     hidden_remainder_z
      - .offset:         88
        .size:           8
        .value_kind:     hidden_global_offset_x
      - .offset:         96
        .size:           8
        .value_kind:     hidden_global_offset_y
      - .offset:         104
        .size:           8
        .value_kind:     hidden_global_offset_z
      - .offset:         112
        .size:           2
        .value_kind:     hidden_grid_dims
    .group_segment_fixed_size: 0
    .kernarg_segment_align: 8
    .kernarg_segment_size: 304
    .language:       OpenCL C
    .language_version:
      - 2
      - 0
    .max_flat_workgroup_size: 1024
    .name:           _ZN9rocsparseL20extract_count_kernelILj1024EiiEEvT1_PKT0_PKS1_21rocsparse_index_base_b20rocsparse_diag_type_PS2_
    .private_segment_fixed_size: 0
    .sgpr_count:     16
    .sgpr_spill_count: 0
    .symbol:         _ZN9rocsparseL20extract_count_kernelILj1024EiiEEvT1_PKT0_PKS1_21rocsparse_index_base_b20rocsparse_diag_type_PS2_.kd
    .uniform_work_group_size: 1
    .uses_dynamic_stack: false
    .vgpr_count:     20
    .vgpr_spill_count: 0
    .wavefront_size: 32
  - .args:
      - .offset:         0
        .size:           4
        .value_kind:     by_value
      - .actual_access:  read_only
        .address_space:  global
        .offset:         8
        .size:           8
        .value_kind:     global_buffer
      - .offset:         16
        .size:           4
        .value_kind:     by_value
      - .actual_access:  write_only
        .address_space:  global
        .offset:         24
        .size:           8
        .value_kind:     global_buffer
    .group_segment_fixed_size: 0
    .kernarg_segment_align: 8
    .kernarg_segment_size: 32
    .language:       OpenCL C
    .language_version:
      - 2
      - 0
    .max_flat_workgroup_size: 1
    .name:           _ZN9rocsparseL23extract_grab_nnz_kernelIiiEEvT0_PKT_21rocsparse_index_base_Pl
    .private_segment_fixed_size: 0
    .sgpr_count:     10
    .sgpr_spill_count: 0
    .symbol:         _ZN9rocsparseL23extract_grab_nnz_kernelIiiEEvT0_PKT_21rocsparse_index_base_Pl.kd
    .uniform_work_group_size: 1
    .uses_dynamic_stack: false
    .vgpr_count:     3
    .vgpr_spill_count: 0
    .wavefront_size: 32
  - .args:
      - .offset:         0
        .size:           8
        .value_kind:     by_value
      - .actual_access:  read_only
        .address_space:  global
        .offset:         8
        .size:           8
        .value_kind:     global_buffer
      - .actual_access:  read_only
        .address_space:  global
        .offset:         16
        .size:           8
        .value_kind:     global_buffer
      - .offset:         24
        .size:           4
        .value_kind:     by_value
      - .offset:         28
        .size:           1
        .value_kind:     by_value
      - .offset:         32
        .size:           4
        .value_kind:     by_value
      - .actual_access:  write_only
        .address_space:  global
        .offset:         40
        .size:           8
        .value_kind:     global_buffer
      - .offset:         48
        .size:           4
        .value_kind:     hidden_block_count_x
      - .offset:         52
        .size:           4
        .value_kind:     hidden_block_count_y
      - .offset:         56
        .size:           4
        .value_kind:     hidden_block_count_z
      - .offset:         60
        .size:           2
        .value_kind:     hidden_group_size_x
      - .offset:         62
        .size:           2
        .value_kind:     hidden_group_size_y
      - .offset:         64
        .size:           2
        .value_kind:     hidden_group_size_z
      - .offset:         66
        .size:           2
        .value_kind:     hidden_remainder_x
      - .offset:         68
        .size:           2
        .value_kind:     hidden_remainder_y
      - .offset:         70
        .size:           2
        .value_kind:     hidden_remainder_z
      - .offset:         88
        .size:           8
        .value_kind:     hidden_global_offset_x
      - .offset:         96
        .size:           8
        .value_kind:     hidden_global_offset_y
      - .offset:         104
        .size:           8
        .value_kind:     hidden_global_offset_z
      - .offset:         112
        .size:           2
        .value_kind:     hidden_grid_dims
    .group_segment_fixed_size: 0
    .kernarg_segment_align: 8
    .kernarg_segment_size: 304
    .language:       OpenCL C
    .language_version:
      - 2
      - 0
    .max_flat_workgroup_size: 1024
    .name:           _ZN9rocsparseL20extract_count_kernelILj1024EilEEvT1_PKT0_PKS1_21rocsparse_index_base_b20rocsparse_diag_type_PS2_
    .private_segment_fixed_size: 0
    .sgpr_count:     12
    .sgpr_spill_count: 0
    .symbol:         _ZN9rocsparseL20extract_count_kernelILj1024EilEEvT1_PKT0_PKS1_21rocsparse_index_base_b20rocsparse_diag_type_PS2_.kd
    .uniform_work_group_size: 1
    .uses_dynamic_stack: false
    .vgpr_count:     9
    .vgpr_spill_count: 0
    .wavefront_size: 32
  - .args:
      - .offset:         0
        .size:           8
        .value_kind:     by_value
      - .actual_access:  read_only
        .address_space:  global
        .offset:         8
        .size:           8
        .value_kind:     global_buffer
      - .offset:         16
        .size:           4
        .value_kind:     by_value
      - .actual_access:  write_only
        .address_space:  global
        .offset:         24
        .size:           8
        .value_kind:     global_buffer
    .group_segment_fixed_size: 0
    .kernarg_segment_align: 8
    .kernarg_segment_size: 32
    .language:       OpenCL C
    .language_version:
      - 2
      - 0
    .max_flat_workgroup_size: 1
    .name:           _ZN9rocsparseL23extract_grab_nnz_kernelIilEEvT0_PKT_21rocsparse_index_base_Pl
    .private_segment_fixed_size: 0
    .sgpr_count:     9
    .sgpr_spill_count: 0
    .symbol:         _ZN9rocsparseL23extract_grab_nnz_kernelIilEEvT0_PKT_21rocsparse_index_base_Pl.kd
    .uniform_work_group_size: 1
    .uses_dynamic_stack: false
    .vgpr_count:     3
    .vgpr_spill_count: 0
    .wavefront_size: 32
  - .args:
      - .offset:         0
        .size:           4
        .value_kind:     by_value
      - .actual_access:  read_only
        .address_space:  global
        .offset:         8
        .size:           8
        .value_kind:     global_buffer
      - .actual_access:  read_only
        .address_space:  global
        .offset:         16
        .size:           8
        .value_kind:     global_buffer
      - .offset:         24
        .size:           4
        .value_kind:     by_value
      - .offset:         28
        .size:           1
        .value_kind:     by_value
      - .offset:         32
        .size:           4
        .value_kind:     by_value
      - .actual_access:  write_only
        .address_space:  global
        .offset:         40
        .size:           8
        .value_kind:     global_buffer
      - .offset:         48
        .size:           4
        .value_kind:     hidden_block_count_x
      - .offset:         52
        .size:           4
        .value_kind:     hidden_block_count_y
      - .offset:         56
        .size:           4
        .value_kind:     hidden_block_count_z
      - .offset:         60
        .size:           2
        .value_kind:     hidden_group_size_x
      - .offset:         62
        .size:           2
        .value_kind:     hidden_group_size_y
      - .offset:         64
        .size:           2
        .value_kind:     hidden_group_size_z
      - .offset:         66
        .size:           2
        .value_kind:     hidden_remainder_x
      - .offset:         68
        .size:           2
        .value_kind:     hidden_remainder_y
      - .offset:         70
        .size:           2
        .value_kind:     hidden_remainder_z
      - .offset:         88
        .size:           8
        .value_kind:     hidden_global_offset_x
      - .offset:         96
        .size:           8
        .value_kind:     hidden_global_offset_y
      - .offset:         104
        .size:           8
        .value_kind:     hidden_global_offset_z
      - .offset:         112
        .size:           2
        .value_kind:     hidden_grid_dims
    .group_segment_fixed_size: 0
    .kernarg_segment_align: 8
    .kernarg_segment_size: 304
    .language:       OpenCL C
    .language_version:
      - 2
      - 0
    .max_flat_workgroup_size: 1024
    .name:           _ZN9rocsparseL20extract_count_kernelILj1024EliEEvT1_PKT0_PKS1_21rocsparse_index_base_b20rocsparse_diag_type_PS2_
    .private_segment_fixed_size: 0
    .sgpr_count:     14
    .sgpr_spill_count: 0
    .symbol:         _ZN9rocsparseL20extract_count_kernelILj1024EliEEvT1_PKT0_PKS1_21rocsparse_index_base_b20rocsparse_diag_type_PS2_.kd
    .uniform_work_group_size: 1
    .uses_dynamic_stack: false
    .vgpr_count:     12
    .vgpr_spill_count: 0
    .wavefront_size: 32
  - .args:
      - .offset:         0
        .size:           4
        .value_kind:     by_value
      - .actual_access:  read_only
        .address_space:  global
        .offset:         8
        .size:           8
        .value_kind:     global_buffer
      - .offset:         16
        .size:           4
        .value_kind:     by_value
      - .actual_access:  write_only
        .address_space:  global
        .offset:         24
        .size:           8
        .value_kind:     global_buffer
    .group_segment_fixed_size: 0
    .kernarg_segment_align: 8
    .kernarg_segment_size: 32
    .language:       OpenCL C
    .language_version:
      - 2
      - 0
    .max_flat_workgroup_size: 1
    .name:           _ZN9rocsparseL23extract_grab_nnz_kernelIliEEvT0_PKT_21rocsparse_index_base_Pl
    .private_segment_fixed_size: 0
    .sgpr_count:     10
    .sgpr_spill_count: 0
    .symbol:         _ZN9rocsparseL23extract_grab_nnz_kernelIliEEvT0_PKT_21rocsparse_index_base_Pl.kd
    .uniform_work_group_size: 1
    .uses_dynamic_stack: false
    .vgpr_count:     3
    .vgpr_spill_count: 0
    .wavefront_size: 32
  - .args:
      - .offset:         0
        .size:           8
        .value_kind:     by_value
      - .actual_access:  read_only
        .address_space:  global
        .offset:         8
        .size:           8
        .value_kind:     global_buffer
      - .actual_access:  read_only
        .address_space:  global
        .offset:         16
        .size:           8
        .value_kind:     global_buffer
      - .offset:         24
        .size:           4
        .value_kind:     by_value
      - .offset:         28
        .size:           1
        .value_kind:     by_value
      - .offset:         32
        .size:           4
        .value_kind:     by_value
      - .actual_access:  write_only
        .address_space:  global
        .offset:         40
        .size:           8
        .value_kind:     global_buffer
      - .offset:         48
        .size:           4
        .value_kind:     hidden_block_count_x
      - .offset:         52
        .size:           4
        .value_kind:     hidden_block_count_y
      - .offset:         56
        .size:           4
        .value_kind:     hidden_block_count_z
      - .offset:         60
        .size:           2
        .value_kind:     hidden_group_size_x
      - .offset:         62
        .size:           2
        .value_kind:     hidden_group_size_y
      - .offset:         64
        .size:           2
        .value_kind:     hidden_group_size_z
      - .offset:         66
        .size:           2
        .value_kind:     hidden_remainder_x
      - .offset:         68
        .size:           2
        .value_kind:     hidden_remainder_y
      - .offset:         70
        .size:           2
        .value_kind:     hidden_remainder_z
      - .offset:         88
        .size:           8
        .value_kind:     hidden_global_offset_x
      - .offset:         96
        .size:           8
        .value_kind:     hidden_global_offset_y
      - .offset:         104
        .size:           8
        .value_kind:     hidden_global_offset_z
      - .offset:         112
        .size:           2
        .value_kind:     hidden_grid_dims
    .group_segment_fixed_size: 0
    .kernarg_segment_align: 8
    .kernarg_segment_size: 304
    .language:       OpenCL C
    .language_version:
      - 2
      - 0
    .max_flat_workgroup_size: 1024
    .name:           _ZN9rocsparseL20extract_count_kernelILj1024EllEEvT1_PKT0_PKS1_21rocsparse_index_base_b20rocsparse_diag_type_PS2_
    .private_segment_fixed_size: 0
    .sgpr_count:     16
    .sgpr_spill_count: 0
    .symbol:         _ZN9rocsparseL20extract_count_kernelILj1024EllEEvT1_PKT0_PKS1_21rocsparse_index_base_b20rocsparse_diag_type_PS2_.kd
    .uniform_work_group_size: 1
    .uses_dynamic_stack: false
    .vgpr_count:     12
    .vgpr_spill_count: 0
    .wavefront_size: 32
  - .args:
      - .offset:         0
        .size:           8
        .value_kind:     by_value
      - .actual_access:  read_only
        .address_space:  global
        .offset:         8
        .size:           8
        .value_kind:     global_buffer
      - .offset:         16
        .size:           4
        .value_kind:     by_value
      - .actual_access:  write_only
        .address_space:  global
        .offset:         24
        .size:           8
        .value_kind:     global_buffer
    .group_segment_fixed_size: 0
    .kernarg_segment_align: 8
    .kernarg_segment_size: 32
    .language:       OpenCL C
    .language_version:
      - 2
      - 0
    .max_flat_workgroup_size: 1
    .name:           _ZN9rocsparseL23extract_grab_nnz_kernelIllEEvT0_PKT_21rocsparse_index_base_Pl
    .private_segment_fixed_size: 0
    .sgpr_count:     10
    .sgpr_spill_count: 0
    .symbol:         _ZN9rocsparseL23extract_grab_nnz_kernelIllEEvT0_PKT_21rocsparse_index_base_Pl.kd
    .uniform_work_group_size: 1
    .uses_dynamic_stack: false
    .vgpr_count:     3
    .vgpr_spill_count: 0
    .wavefront_size: 32
  - .args:
      - .offset:         0
        .size:           4
        .value_kind:     by_value
      - .actual_access:  read_only
        .address_space:  global
        .offset:         8
        .size:           8
        .value_kind:     global_buffer
      - .actual_access:  read_only
        .address_space:  global
        .offset:         16
        .size:           8
        .value_kind:     global_buffer
      - .actual_access:  read_only
        .address_space:  global
        .offset:         24
        .size:           8
        .value_kind:     global_buffer
      - .offset:         32
        .size:           4
        .value_kind:     by_value
      - .offset:         36
        .size:           1
        .value_kind:     by_value
      - .offset:         40
        .size:           4
        .value_kind:     by_value
      - .actual_access:  read_only
        .address_space:  global
        .offset:         48
        .size:           8
        .value_kind:     global_buffer
      - .actual_access:  write_only
        .address_space:  global
        .offset:         56
        .size:           8
        .value_kind:     global_buffer
      - .actual_access:  write_only
        .address_space:  global
        .offset:         64
        .size:           8
        .value_kind:     global_buffer
      - .offset:         72
        .size:           4
        .value_kind:     by_value
      - .offset:         80
        .size:           4
        .value_kind:     hidden_block_count_x
      - .offset:         84
        .size:           4
        .value_kind:     hidden_block_count_y
      - .offset:         88
        .size:           4
        .value_kind:     hidden_block_count_z
      - .offset:         92
        .size:           2
        .value_kind:     hidden_group_size_x
      - .offset:         94
        .size:           2
        .value_kind:     hidden_group_size_y
      - .offset:         96
        .size:           2
        .value_kind:     hidden_group_size_z
      - .offset:         98
        .size:           2
        .value_kind:     hidden_remainder_x
      - .offset:         100
        .size:           2
        .value_kind:     hidden_remainder_y
      - .offset:         102
        .size:           2
        .value_kind:     hidden_remainder_z
      - .offset:         120
        .size:           8
        .value_kind:     hidden_global_offset_x
      - .offset:         128
        .size:           8
        .value_kind:     hidden_global_offset_y
      - .offset:         136
        .size:           8
        .value_kind:     hidden_global_offset_z
      - .offset:         144
        .size:           2
        .value_kind:     hidden_grid_dims
    .group_segment_fixed_size: 0
    .kernarg_segment_align: 8
    .kernarg_segment_size: 336
    .language:       OpenCL C
    .language_version:
      - 2
      - 0
    .max_flat_workgroup_size: 1024
    .name:           _ZN9rocsparseL28internal_extract_fill_kernelILj1024EDF16_iiEEvT2_PKT1_PKS1_PKT0_21rocsparse_index_base_b20rocsparse_diag_type_S4_PS1_PS7_SA_
    .private_segment_fixed_size: 0
    .sgpr_count:     22
    .sgpr_spill_count: 0
    .symbol:         _ZN9rocsparseL28internal_extract_fill_kernelILj1024EDF16_iiEEvT2_PKT1_PKS1_PKT0_21rocsparse_index_base_b20rocsparse_diag_type_S4_PS1_PS7_SA_.kd
    .uniform_work_group_size: 1
    .uses_dynamic_stack: false
    .vgpr_count:     11
    .vgpr_spill_count: 0
    .wavefront_size: 32
  - .args:
      - .offset:         0
        .size:           8
        .value_kind:     by_value
      - .actual_access:  read_only
        .address_space:  global
        .offset:         8
        .size:           8
        .value_kind:     global_buffer
      - .actual_access:  read_only
        .address_space:  global
        .offset:         16
        .size:           8
        .value_kind:     global_buffer
      - .actual_access:  read_only
        .address_space:  global
        .offset:         24
        .size:           8
        .value_kind:     global_buffer
      - .offset:         32
        .size:           4
        .value_kind:     by_value
      - .offset:         36
        .size:           1
        .value_kind:     by_value
      - .offset:         40
        .size:           4
        .value_kind:     by_value
      - .actual_access:  read_only
        .address_space:  global
        .offset:         48
        .size:           8
        .value_kind:     global_buffer
      - .actual_access:  write_only
        .address_space:  global
        .offset:         56
        .size:           8
        .value_kind:     global_buffer
      - .actual_access:  write_only
        .address_space:  global
        .offset:         64
        .size:           8
        .value_kind:     global_buffer
      - .offset:         72
        .size:           4
        .value_kind:     by_value
      - .offset:         80
        .size:           4
        .value_kind:     hidden_block_count_x
      - .offset:         84
        .size:           4
        .value_kind:     hidden_block_count_y
      - .offset:         88
        .size:           4
        .value_kind:     hidden_block_count_z
      - .offset:         92
        .size:           2
        .value_kind:     hidden_group_size_x
      - .offset:         94
        .size:           2
        .value_kind:     hidden_group_size_y
      - .offset:         96
        .size:           2
        .value_kind:     hidden_group_size_z
      - .offset:         98
        .size:           2
        .value_kind:     hidden_remainder_x
      - .offset:         100
        .size:           2
        .value_kind:     hidden_remainder_y
      - .offset:         102
        .size:           2
        .value_kind:     hidden_remainder_z
      - .offset:         120
        .size:           8
        .value_kind:     hidden_global_offset_x
      - .offset:         128
        .size:           8
        .value_kind:     hidden_global_offset_y
      - .offset:         136
        .size:           8
        .value_kind:     hidden_global_offset_z
      - .offset:         144
        .size:           2
        .value_kind:     hidden_grid_dims
    .group_segment_fixed_size: 0
    .kernarg_segment_align: 8
    .kernarg_segment_size: 336
    .language:       OpenCL C
    .language_version:
      - 2
      - 0
    .max_flat_workgroup_size: 1024
    .name:           _ZN9rocsparseL28internal_extract_fill_kernelILj1024EDF16_ilEEvT2_PKT1_PKS1_PKT0_21rocsparse_index_base_b20rocsparse_diag_type_S4_PS1_PS7_SA_
    .private_segment_fixed_size: 0
    .sgpr_count:     22
    .sgpr_spill_count: 0
    .symbol:         _ZN9rocsparseL28internal_extract_fill_kernelILj1024EDF16_ilEEvT2_PKT1_PKS1_PKT0_21rocsparse_index_base_b20rocsparse_diag_type_S4_PS1_PS7_SA_.kd
    .uniform_work_group_size: 1
    .uses_dynamic_stack: false
    .vgpr_count:     13
    .vgpr_spill_count: 0
    .wavefront_size: 32
  - .args:
      - .offset:         0
        .size:           4
        .value_kind:     by_value
      - .actual_access:  read_only
        .address_space:  global
        .offset:         8
        .size:           8
        .value_kind:     global_buffer
      - .actual_access:  read_only
        .address_space:  global
        .offset:         16
        .size:           8
        .value_kind:     global_buffer
      - .actual_access:  read_only
        .address_space:  global
        .offset:         24
        .size:           8
        .value_kind:     global_buffer
      - .offset:         32
        .size:           4
        .value_kind:     by_value
      - .offset:         36
        .size:           1
        .value_kind:     by_value
      - .offset:         40
        .size:           4
        .value_kind:     by_value
      - .actual_access:  read_only
        .address_space:  global
        .offset:         48
        .size:           8
        .value_kind:     global_buffer
      - .actual_access:  write_only
        .address_space:  global
        .offset:         56
        .size:           8
        .value_kind:     global_buffer
      - .actual_access:  write_only
        .address_space:  global
        .offset:         64
        .size:           8
        .value_kind:     global_buffer
      - .offset:         72
        .size:           4
        .value_kind:     by_value
      - .offset:         80
        .size:           4
        .value_kind:     hidden_block_count_x
      - .offset:         84
        .size:           4
        .value_kind:     hidden_block_count_y
      - .offset:         88
        .size:           4
        .value_kind:     hidden_block_count_z
      - .offset:         92
        .size:           2
        .value_kind:     hidden_group_size_x
      - .offset:         94
        .size:           2
        .value_kind:     hidden_group_size_y
      - .offset:         96
        .size:           2
        .value_kind:     hidden_group_size_z
      - .offset:         98
        .size:           2
        .value_kind:     hidden_remainder_x
      - .offset:         100
        .size:           2
        .value_kind:     hidden_remainder_y
      - .offset:         102
        .size:           2
        .value_kind:     hidden_remainder_z
      - .offset:         120
        .size:           8
        .value_kind:     hidden_global_offset_x
      - .offset:         128
        .size:           8
        .value_kind:     hidden_global_offset_y
      - .offset:         136
        .size:           8
        .value_kind:     hidden_global_offset_z
      - .offset:         144
        .size:           2
        .value_kind:     hidden_grid_dims
    .group_segment_fixed_size: 0
    .kernarg_segment_align: 8
    .kernarg_segment_size: 336
    .language:       OpenCL C
    .language_version:
      - 2
      - 0
    .max_flat_workgroup_size: 1024
    .name:           _ZN9rocsparseL28internal_extract_fill_kernelILj1024EDF16_liEEvT2_PKT1_PKS1_PKT0_21rocsparse_index_base_b20rocsparse_diag_type_S4_PS1_PS7_SA_
    .private_segment_fixed_size: 0
    .sgpr_count:     22
    .sgpr_spill_count: 0
    .symbol:         _ZN9rocsparseL28internal_extract_fill_kernelILj1024EDF16_liEEvT2_PKT1_PKS1_PKT0_21rocsparse_index_base_b20rocsparse_diag_type_S4_PS1_PS7_SA_.kd
    .uniform_work_group_size: 1
    .uses_dynamic_stack: false
    .vgpr_count:     19
    .vgpr_spill_count: 0
    .wavefront_size: 32
  - .args:
      - .offset:         0
        .size:           8
        .value_kind:     by_value
      - .actual_access:  read_only
        .address_space:  global
        .offset:         8
        .size:           8
        .value_kind:     global_buffer
      - .actual_access:  read_only
        .address_space:  global
        .offset:         16
        .size:           8
        .value_kind:     global_buffer
      - .actual_access:  read_only
        .address_space:  global
        .offset:         24
        .size:           8
        .value_kind:     global_buffer
      - .offset:         32
        .size:           4
        .value_kind:     by_value
      - .offset:         36
        .size:           1
        .value_kind:     by_value
      - .offset:         40
        .size:           4
        .value_kind:     by_value
      - .actual_access:  read_only
        .address_space:  global
        .offset:         48
        .size:           8
        .value_kind:     global_buffer
      - .actual_access:  write_only
        .address_space:  global
        .offset:         56
        .size:           8
        .value_kind:     global_buffer
      - .actual_access:  write_only
        .address_space:  global
        .offset:         64
        .size:           8
        .value_kind:     global_buffer
      - .offset:         72
        .size:           4
        .value_kind:     by_value
      - .offset:         80
        .size:           4
        .value_kind:     hidden_block_count_x
      - .offset:         84
        .size:           4
        .value_kind:     hidden_block_count_y
      - .offset:         88
        .size:           4
        .value_kind:     hidden_block_count_z
      - .offset:         92
        .size:           2
        .value_kind:     hidden_group_size_x
      - .offset:         94
        .size:           2
        .value_kind:     hidden_group_size_y
      - .offset:         96
        .size:           2
        .value_kind:     hidden_group_size_z
      - .offset:         98
        .size:           2
        .value_kind:     hidden_remainder_x
      - .offset:         100
        .size:           2
        .value_kind:     hidden_remainder_y
      - .offset:         102
        .size:           2
        .value_kind:     hidden_remainder_z
      - .offset:         120
        .size:           8
        .value_kind:     hidden_global_offset_x
      - .offset:         128
        .size:           8
        .value_kind:     hidden_global_offset_y
      - .offset:         136
        .size:           8
        .value_kind:     hidden_global_offset_z
      - .offset:         144
        .size:           2
        .value_kind:     hidden_grid_dims
    .group_segment_fixed_size: 0
    .kernarg_segment_align: 8
    .kernarg_segment_size: 336
    .language:       OpenCL C
    .language_version:
      - 2
      - 0
    .max_flat_workgroup_size: 1024
    .name:           _ZN9rocsparseL28internal_extract_fill_kernelILj1024EDF16_llEEvT2_PKT1_PKS1_PKT0_21rocsparse_index_base_b20rocsparse_diag_type_S4_PS1_PS7_SA_
    .private_segment_fixed_size: 0
    .sgpr_count:     22
    .sgpr_spill_count: 0
    .symbol:         _ZN9rocsparseL28internal_extract_fill_kernelILj1024EDF16_llEEvT2_PKT1_PKS1_PKT0_21rocsparse_index_base_b20rocsparse_diag_type_S4_PS1_PS7_SA_.kd
    .uniform_work_group_size: 1
    .uses_dynamic_stack: false
    .vgpr_count:     21
    .vgpr_spill_count: 0
    .wavefront_size: 32
  - .args:
      - .offset:         0
        .size:           4
        .value_kind:     by_value
      - .actual_access:  read_only
        .address_space:  global
        .offset:         8
        .size:           8
        .value_kind:     global_buffer
      - .actual_access:  read_only
        .address_space:  global
        .offset:         16
        .size:           8
        .value_kind:     global_buffer
      - .actual_access:  read_only
        .address_space:  global
        .offset:         24
        .size:           8
        .value_kind:     global_buffer
      - .offset:         32
        .size:           4
        .value_kind:     by_value
      - .offset:         36
        .size:           1
        .value_kind:     by_value
      - .offset:         40
        .size:           4
        .value_kind:     by_value
      - .actual_access:  read_only
        .address_space:  global
        .offset:         48
        .size:           8
        .value_kind:     global_buffer
      - .actual_access:  write_only
        .address_space:  global
        .offset:         56
        .size:           8
        .value_kind:     global_buffer
      - .actual_access:  write_only
        .address_space:  global
        .offset:         64
        .size:           8
        .value_kind:     global_buffer
      - .offset:         72
        .size:           4
        .value_kind:     by_value
      - .offset:         80
        .size:           4
        .value_kind:     hidden_block_count_x
      - .offset:         84
        .size:           4
        .value_kind:     hidden_block_count_y
      - .offset:         88
        .size:           4
        .value_kind:     hidden_block_count_z
      - .offset:         92
        .size:           2
        .value_kind:     hidden_group_size_x
      - .offset:         94
        .size:           2
        .value_kind:     hidden_group_size_y
      - .offset:         96
        .size:           2
        .value_kind:     hidden_group_size_z
      - .offset:         98
        .size:           2
        .value_kind:     hidden_remainder_x
      - .offset:         100
        .size:           2
        .value_kind:     hidden_remainder_y
      - .offset:         102
        .size:           2
        .value_kind:     hidden_remainder_z
      - .offset:         120
        .size:           8
        .value_kind:     hidden_global_offset_x
      - .offset:         128
        .size:           8
        .value_kind:     hidden_global_offset_y
      - .offset:         136
        .size:           8
        .value_kind:     hidden_global_offset_z
      - .offset:         144
        .size:           2
        .value_kind:     hidden_grid_dims
    .group_segment_fixed_size: 0
    .kernarg_segment_align: 8
    .kernarg_segment_size: 336
    .language:       OpenCL C
    .language_version:
      - 2
      - 0
    .max_flat_workgroup_size: 1024
    .name:           _ZN9rocsparseL28internal_extract_fill_kernelILj1024E18rocsparse_bfloat16iiEEvT2_PKT1_PKS2_PKT0_21rocsparse_index_base_b20rocsparse_diag_type_S5_PS2_PS8_SB_
    .private_segment_fixed_size: 0
    .sgpr_count:     22
    .sgpr_spill_count: 0
    .symbol:         _ZN9rocsparseL28internal_extract_fill_kernelILj1024E18rocsparse_bfloat16iiEEvT2_PKT1_PKS2_PKT0_21rocsparse_index_base_b20rocsparse_diag_type_S5_PS2_PS8_SB_.kd
    .uniform_work_group_size: 1
    .uses_dynamic_stack: false
    .vgpr_count:     11
    .vgpr_spill_count: 0
    .wavefront_size: 32
  - .args:
      - .offset:         0
        .size:           8
        .value_kind:     by_value
      - .actual_access:  read_only
        .address_space:  global
        .offset:         8
        .size:           8
        .value_kind:     global_buffer
      - .actual_access:  read_only
        .address_space:  global
        .offset:         16
        .size:           8
        .value_kind:     global_buffer
      - .actual_access:  read_only
        .address_space:  global
        .offset:         24
        .size:           8
        .value_kind:     global_buffer
      - .offset:         32
        .size:           4
        .value_kind:     by_value
      - .offset:         36
        .size:           1
        .value_kind:     by_value
      - .offset:         40
        .size:           4
        .value_kind:     by_value
      - .actual_access:  read_only
        .address_space:  global
        .offset:         48
        .size:           8
        .value_kind:     global_buffer
      - .actual_access:  write_only
        .address_space:  global
        .offset:         56
        .size:           8
        .value_kind:     global_buffer
      - .actual_access:  write_only
        .address_space:  global
        .offset:         64
        .size:           8
        .value_kind:     global_buffer
      - .offset:         72
        .size:           4
        .value_kind:     by_value
      - .offset:         80
        .size:           4
        .value_kind:     hidden_block_count_x
      - .offset:         84
        .size:           4
        .value_kind:     hidden_block_count_y
      - .offset:         88
        .size:           4
        .value_kind:     hidden_block_count_z
      - .offset:         92
        .size:           2
        .value_kind:     hidden_group_size_x
      - .offset:         94
        .size:           2
        .value_kind:     hidden_group_size_y
      - .offset:         96
        .size:           2
        .value_kind:     hidden_group_size_z
      - .offset:         98
        .size:           2
        .value_kind:     hidden_remainder_x
      - .offset:         100
        .size:           2
        .value_kind:     hidden_remainder_y
      - .offset:         102
        .size:           2
        .value_kind:     hidden_remainder_z
      - .offset:         120
        .size:           8
        .value_kind:     hidden_global_offset_x
      - .offset:         128
        .size:           8
        .value_kind:     hidden_global_offset_y
      - .offset:         136
        .size:           8
        .value_kind:     hidden_global_offset_z
      - .offset:         144
        .size:           2
        .value_kind:     hidden_grid_dims
    .group_segment_fixed_size: 0
    .kernarg_segment_align: 8
    .kernarg_segment_size: 336
    .language:       OpenCL C
    .language_version:
      - 2
      - 0
    .max_flat_workgroup_size: 1024
    .name:           _ZN9rocsparseL28internal_extract_fill_kernelILj1024E18rocsparse_bfloat16ilEEvT2_PKT1_PKS2_PKT0_21rocsparse_index_base_b20rocsparse_diag_type_S5_PS2_PS8_SB_
    .private_segment_fixed_size: 0
    .sgpr_count:     22
    .sgpr_spill_count: 0
    .symbol:         _ZN9rocsparseL28internal_extract_fill_kernelILj1024E18rocsparse_bfloat16ilEEvT2_PKT1_PKS2_PKT0_21rocsparse_index_base_b20rocsparse_diag_type_S5_PS2_PS8_SB_.kd
    .uniform_work_group_size: 1
    .uses_dynamic_stack: false
    .vgpr_count:     13
    .vgpr_spill_count: 0
    .wavefront_size: 32
  - .args:
      - .offset:         0
        .size:           4
        .value_kind:     by_value
      - .actual_access:  read_only
        .address_space:  global
        .offset:         8
        .size:           8
        .value_kind:     global_buffer
      - .actual_access:  read_only
        .address_space:  global
        .offset:         16
        .size:           8
        .value_kind:     global_buffer
      - .actual_access:  read_only
        .address_space:  global
        .offset:         24
        .size:           8
        .value_kind:     global_buffer
      - .offset:         32
        .size:           4
        .value_kind:     by_value
      - .offset:         36
        .size:           1
        .value_kind:     by_value
      - .offset:         40
        .size:           4
        .value_kind:     by_value
      - .actual_access:  read_only
        .address_space:  global
        .offset:         48
        .size:           8
        .value_kind:     global_buffer
      - .actual_access:  write_only
        .address_space:  global
        .offset:         56
        .size:           8
        .value_kind:     global_buffer
      - .actual_access:  write_only
        .address_space:  global
        .offset:         64
        .size:           8
        .value_kind:     global_buffer
      - .offset:         72
        .size:           4
        .value_kind:     by_value
      - .offset:         80
        .size:           4
        .value_kind:     hidden_block_count_x
      - .offset:         84
        .size:           4
        .value_kind:     hidden_block_count_y
      - .offset:         88
        .size:           4
        .value_kind:     hidden_block_count_z
      - .offset:         92
        .size:           2
        .value_kind:     hidden_group_size_x
      - .offset:         94
        .size:           2
        .value_kind:     hidden_group_size_y
      - .offset:         96
        .size:           2
        .value_kind:     hidden_group_size_z
      - .offset:         98
        .size:           2
        .value_kind:     hidden_remainder_x
      - .offset:         100
        .size:           2
        .value_kind:     hidden_remainder_y
      - .offset:         102
        .size:           2
        .value_kind:     hidden_remainder_z
      - .offset:         120
        .size:           8
        .value_kind:     hidden_global_offset_x
      - .offset:         128
        .size:           8
        .value_kind:     hidden_global_offset_y
      - .offset:         136
        .size:           8
        .value_kind:     hidden_global_offset_z
      - .offset:         144
        .size:           2
        .value_kind:     hidden_grid_dims
    .group_segment_fixed_size: 0
    .kernarg_segment_align: 8
    .kernarg_segment_size: 336
    .language:       OpenCL C
    .language_version:
      - 2
      - 0
    .max_flat_workgroup_size: 1024
    .name:           _ZN9rocsparseL28internal_extract_fill_kernelILj1024E18rocsparse_bfloat16liEEvT2_PKT1_PKS2_PKT0_21rocsparse_index_base_b20rocsparse_diag_type_S5_PS2_PS8_SB_
    .private_segment_fixed_size: 0
    .sgpr_count:     22
    .sgpr_spill_count: 0
    .symbol:         _ZN9rocsparseL28internal_extract_fill_kernelILj1024E18rocsparse_bfloat16liEEvT2_PKT1_PKS2_PKT0_21rocsparse_index_base_b20rocsparse_diag_type_S5_PS2_PS8_SB_.kd
    .uniform_work_group_size: 1
    .uses_dynamic_stack: false
    .vgpr_count:     19
    .vgpr_spill_count: 0
    .wavefront_size: 32
  - .args:
      - .offset:         0
        .size:           8
        .value_kind:     by_value
      - .actual_access:  read_only
        .address_space:  global
        .offset:         8
        .size:           8
        .value_kind:     global_buffer
      - .actual_access:  read_only
        .address_space:  global
        .offset:         16
        .size:           8
        .value_kind:     global_buffer
      - .actual_access:  read_only
        .address_space:  global
        .offset:         24
        .size:           8
        .value_kind:     global_buffer
      - .offset:         32
        .size:           4
        .value_kind:     by_value
      - .offset:         36
        .size:           1
        .value_kind:     by_value
      - .offset:         40
        .size:           4
        .value_kind:     by_value
      - .actual_access:  read_only
        .address_space:  global
        .offset:         48
        .size:           8
        .value_kind:     global_buffer
      - .actual_access:  write_only
        .address_space:  global
        .offset:         56
        .size:           8
        .value_kind:     global_buffer
      - .actual_access:  write_only
        .address_space:  global
        .offset:         64
        .size:           8
        .value_kind:     global_buffer
      - .offset:         72
        .size:           4
        .value_kind:     by_value
      - .offset:         80
        .size:           4
        .value_kind:     hidden_block_count_x
      - .offset:         84
        .size:           4
        .value_kind:     hidden_block_count_y
      - .offset:         88
        .size:           4
        .value_kind:     hidden_block_count_z
      - .offset:         92
        .size:           2
        .value_kind:     hidden_group_size_x
      - .offset:         94
        .size:           2
        .value_kind:     hidden_group_size_y
      - .offset:         96
        .size:           2
        .value_kind:     hidden_group_size_z
      - .offset:         98
        .size:           2
        .value_kind:     hidden_remainder_x
      - .offset:         100
        .size:           2
        .value_kind:     hidden_remainder_y
      - .offset:         102
        .size:           2
        .value_kind:     hidden_remainder_z
      - .offset:         120
        .size:           8
        .value_kind:     hidden_global_offset_x
      - .offset:         128
        .size:           8
        .value_kind:     hidden_global_offset_y
      - .offset:         136
        .size:           8
        .value_kind:     hidden_global_offset_z
      - .offset:         144
        .size:           2
        .value_kind:     hidden_grid_dims
    .group_segment_fixed_size: 0
    .kernarg_segment_align: 8
    .kernarg_segment_size: 336
    .language:       OpenCL C
    .language_version:
      - 2
      - 0
    .max_flat_workgroup_size: 1024
    .name:           _ZN9rocsparseL28internal_extract_fill_kernelILj1024E18rocsparse_bfloat16llEEvT2_PKT1_PKS2_PKT0_21rocsparse_index_base_b20rocsparse_diag_type_S5_PS2_PS8_SB_
    .private_segment_fixed_size: 0
    .sgpr_count:     22
    .sgpr_spill_count: 0
    .symbol:         _ZN9rocsparseL28internal_extract_fill_kernelILj1024E18rocsparse_bfloat16llEEvT2_PKT1_PKS2_PKT0_21rocsparse_index_base_b20rocsparse_diag_type_S5_PS2_PS8_SB_.kd
    .uniform_work_group_size: 1
    .uses_dynamic_stack: false
    .vgpr_count:     21
    .vgpr_spill_count: 0
    .wavefront_size: 32
  - .args:
      - .offset:         0
        .size:           4
        .value_kind:     by_value
      - .actual_access:  read_only
        .address_space:  global
        .offset:         8
        .size:           8
        .value_kind:     global_buffer
      - .actual_access:  read_only
        .address_space:  global
        .offset:         16
        .size:           8
        .value_kind:     global_buffer
      - .actual_access:  read_only
        .address_space:  global
        .offset:         24
        .size:           8
        .value_kind:     global_buffer
      - .offset:         32
        .size:           4
        .value_kind:     by_value
      - .offset:         36
        .size:           1
        .value_kind:     by_value
      - .offset:         40
        .size:           4
        .value_kind:     by_value
      - .actual_access:  read_only
        .address_space:  global
        .offset:         48
        .size:           8
        .value_kind:     global_buffer
      - .actual_access:  write_only
        .address_space:  global
        .offset:         56
        .size:           8
        .value_kind:     global_buffer
      - .actual_access:  write_only
        .address_space:  global
        .offset:         64
        .size:           8
        .value_kind:     global_buffer
      - .offset:         72
        .size:           4
        .value_kind:     by_value
      - .offset:         80
        .size:           4
        .value_kind:     hidden_block_count_x
      - .offset:         84
        .size:           4
        .value_kind:     hidden_block_count_y
      - .offset:         88
        .size:           4
        .value_kind:     hidden_block_count_z
      - .offset:         92
        .size:           2
        .value_kind:     hidden_group_size_x
      - .offset:         94
        .size:           2
        .value_kind:     hidden_group_size_y
      - .offset:         96
        .size:           2
        .value_kind:     hidden_group_size_z
      - .offset:         98
        .size:           2
        .value_kind:     hidden_remainder_x
      - .offset:         100
        .size:           2
        .value_kind:     hidden_remainder_y
      - .offset:         102
        .size:           2
        .value_kind:     hidden_remainder_z
      - .offset:         120
        .size:           8
        .value_kind:     hidden_global_offset_x
      - .offset:         128
        .size:           8
        .value_kind:     hidden_global_offset_y
      - .offset:         136
        .size:           8
        .value_kind:     hidden_global_offset_z
      - .offset:         144
        .size:           2
        .value_kind:     hidden_grid_dims
    .group_segment_fixed_size: 0
    .kernarg_segment_align: 8
    .kernarg_segment_size: 336
    .language:       OpenCL C
    .language_version:
      - 2
      - 0
    .max_flat_workgroup_size: 1024
    .name:           _ZN9rocsparseL28internal_extract_fill_kernelILj1024EfiiEEvT2_PKT1_PKS1_PKT0_21rocsparse_index_base_b20rocsparse_diag_type_S4_PS1_PS7_SA_
    .private_segment_fixed_size: 0
    .sgpr_count:     22
    .sgpr_spill_count: 0
    .symbol:         _ZN9rocsparseL28internal_extract_fill_kernelILj1024EfiiEEvT2_PKT1_PKS1_PKT0_21rocsparse_index_base_b20rocsparse_diag_type_S4_PS1_PS7_SA_.kd
    .uniform_work_group_size: 1
    .uses_dynamic_stack: false
    .vgpr_count:     11
    .vgpr_spill_count: 0
    .wavefront_size: 32
  - .args:
      - .offset:         0
        .size:           8
        .value_kind:     by_value
      - .actual_access:  read_only
        .address_space:  global
        .offset:         8
        .size:           8
        .value_kind:     global_buffer
      - .actual_access:  read_only
        .address_space:  global
        .offset:         16
        .size:           8
        .value_kind:     global_buffer
      - .actual_access:  read_only
        .address_space:  global
        .offset:         24
        .size:           8
        .value_kind:     global_buffer
      - .offset:         32
        .size:           4
        .value_kind:     by_value
      - .offset:         36
        .size:           1
        .value_kind:     by_value
      - .offset:         40
        .size:           4
        .value_kind:     by_value
      - .actual_access:  read_only
        .address_space:  global
        .offset:         48
        .size:           8
        .value_kind:     global_buffer
      - .actual_access:  write_only
        .address_space:  global
        .offset:         56
        .size:           8
        .value_kind:     global_buffer
      - .actual_access:  write_only
        .address_space:  global
        .offset:         64
        .size:           8
        .value_kind:     global_buffer
      - .offset:         72
        .size:           4
        .value_kind:     by_value
      - .offset:         80
        .size:           4
        .value_kind:     hidden_block_count_x
      - .offset:         84
        .size:           4
        .value_kind:     hidden_block_count_y
      - .offset:         88
        .size:           4
        .value_kind:     hidden_block_count_z
      - .offset:         92
        .size:           2
        .value_kind:     hidden_group_size_x
      - .offset:         94
        .size:           2
        .value_kind:     hidden_group_size_y
      - .offset:         96
        .size:           2
        .value_kind:     hidden_group_size_z
      - .offset:         98
        .size:           2
        .value_kind:     hidden_remainder_x
      - .offset:         100
        .size:           2
        .value_kind:     hidden_remainder_y
      - .offset:         102
        .size:           2
        .value_kind:     hidden_remainder_z
      - .offset:         120
        .size:           8
        .value_kind:     hidden_global_offset_x
      - .offset:         128
        .size:           8
        .value_kind:     hidden_global_offset_y
      - .offset:         136
        .size:           8
        .value_kind:     hidden_global_offset_z
      - .offset:         144
        .size:           2
        .value_kind:     hidden_grid_dims
    .group_segment_fixed_size: 0
    .kernarg_segment_align: 8
    .kernarg_segment_size: 336
    .language:       OpenCL C
    .language_version:
      - 2
      - 0
    .max_flat_workgroup_size: 1024
    .name:           _ZN9rocsparseL28internal_extract_fill_kernelILj1024EfilEEvT2_PKT1_PKS1_PKT0_21rocsparse_index_base_b20rocsparse_diag_type_S4_PS1_PS7_SA_
    .private_segment_fixed_size: 0
    .sgpr_count:     22
    .sgpr_spill_count: 0
    .symbol:         _ZN9rocsparseL28internal_extract_fill_kernelILj1024EfilEEvT2_PKT1_PKS1_PKT0_21rocsparse_index_base_b20rocsparse_diag_type_S4_PS1_PS7_SA_.kd
    .uniform_work_group_size: 1
    .uses_dynamic_stack: false
    .vgpr_count:     13
    .vgpr_spill_count: 0
    .wavefront_size: 32
  - .args:
      - .offset:         0
        .size:           4
        .value_kind:     by_value
      - .actual_access:  read_only
        .address_space:  global
        .offset:         8
        .size:           8
        .value_kind:     global_buffer
      - .actual_access:  read_only
        .address_space:  global
        .offset:         16
        .size:           8
        .value_kind:     global_buffer
      - .actual_access:  read_only
        .address_space:  global
        .offset:         24
        .size:           8
        .value_kind:     global_buffer
      - .offset:         32
        .size:           4
        .value_kind:     by_value
      - .offset:         36
        .size:           1
        .value_kind:     by_value
      - .offset:         40
        .size:           4
        .value_kind:     by_value
      - .actual_access:  read_only
        .address_space:  global
        .offset:         48
        .size:           8
        .value_kind:     global_buffer
      - .actual_access:  write_only
        .address_space:  global
        .offset:         56
        .size:           8
        .value_kind:     global_buffer
      - .actual_access:  write_only
        .address_space:  global
        .offset:         64
        .size:           8
        .value_kind:     global_buffer
      - .offset:         72
        .size:           4
        .value_kind:     by_value
      - .offset:         80
        .size:           4
        .value_kind:     hidden_block_count_x
      - .offset:         84
        .size:           4
        .value_kind:     hidden_block_count_y
      - .offset:         88
        .size:           4
        .value_kind:     hidden_block_count_z
      - .offset:         92
        .size:           2
        .value_kind:     hidden_group_size_x
      - .offset:         94
        .size:           2
        .value_kind:     hidden_group_size_y
      - .offset:         96
        .size:           2
        .value_kind:     hidden_group_size_z
      - .offset:         98
        .size:           2
        .value_kind:     hidden_remainder_x
      - .offset:         100
        .size:           2
        .value_kind:     hidden_remainder_y
      - .offset:         102
        .size:           2
        .value_kind:     hidden_remainder_z
      - .offset:         120
        .size:           8
        .value_kind:     hidden_global_offset_x
      - .offset:         128
        .size:           8
        .value_kind:     hidden_global_offset_y
      - .offset:         136
        .size:           8
        .value_kind:     hidden_global_offset_z
      - .offset:         144
        .size:           2
        .value_kind:     hidden_grid_dims
    .group_segment_fixed_size: 0
    .kernarg_segment_align: 8
    .kernarg_segment_size: 336
    .language:       OpenCL C
    .language_version:
      - 2
      - 0
    .max_flat_workgroup_size: 1024
    .name:           _ZN9rocsparseL28internal_extract_fill_kernelILj1024EfliEEvT2_PKT1_PKS1_PKT0_21rocsparse_index_base_b20rocsparse_diag_type_S4_PS1_PS7_SA_
    .private_segment_fixed_size: 0
    .sgpr_count:     22
    .sgpr_spill_count: 0
    .symbol:         _ZN9rocsparseL28internal_extract_fill_kernelILj1024EfliEEvT2_PKT1_PKS1_PKT0_21rocsparse_index_base_b20rocsparse_diag_type_S4_PS1_PS7_SA_.kd
    .uniform_work_group_size: 1
    .uses_dynamic_stack: false
    .vgpr_count:     17
    .vgpr_spill_count: 0
    .wavefront_size: 32
  - .args:
      - .offset:         0
        .size:           8
        .value_kind:     by_value
      - .actual_access:  read_only
        .address_space:  global
        .offset:         8
        .size:           8
        .value_kind:     global_buffer
      - .actual_access:  read_only
        .address_space:  global
        .offset:         16
        .size:           8
        .value_kind:     global_buffer
      - .actual_access:  read_only
        .address_space:  global
        .offset:         24
        .size:           8
        .value_kind:     global_buffer
      - .offset:         32
        .size:           4
        .value_kind:     by_value
      - .offset:         36
        .size:           1
        .value_kind:     by_value
      - .offset:         40
        .size:           4
        .value_kind:     by_value
      - .actual_access:  read_only
        .address_space:  global
        .offset:         48
        .size:           8
        .value_kind:     global_buffer
      - .actual_access:  write_only
        .address_space:  global
        .offset:         56
        .size:           8
        .value_kind:     global_buffer
      - .actual_access:  write_only
        .address_space:  global
        .offset:         64
        .size:           8
        .value_kind:     global_buffer
      - .offset:         72
        .size:           4
        .value_kind:     by_value
      - .offset:         80
        .size:           4
        .value_kind:     hidden_block_count_x
      - .offset:         84
        .size:           4
        .value_kind:     hidden_block_count_y
      - .offset:         88
        .size:           4
        .value_kind:     hidden_block_count_z
      - .offset:         92
        .size:           2
        .value_kind:     hidden_group_size_x
      - .offset:         94
        .size:           2
        .value_kind:     hidden_group_size_y
      - .offset:         96
        .size:           2
        .value_kind:     hidden_group_size_z
      - .offset:         98
        .size:           2
        .value_kind:     hidden_remainder_x
      - .offset:         100
        .size:           2
        .value_kind:     hidden_remainder_y
      - .offset:         102
        .size:           2
        .value_kind:     hidden_remainder_z
      - .offset:         120
        .size:           8
        .value_kind:     hidden_global_offset_x
      - .offset:         128
        .size:           8
        .value_kind:     hidden_global_offset_y
      - .offset:         136
        .size:           8
        .value_kind:     hidden_global_offset_z
      - .offset:         144
        .size:           2
        .value_kind:     hidden_grid_dims
    .group_segment_fixed_size: 0
    .kernarg_segment_align: 8
    .kernarg_segment_size: 336
    .language:       OpenCL C
    .language_version:
      - 2
      - 0
    .max_flat_workgroup_size: 1024
    .name:           _ZN9rocsparseL28internal_extract_fill_kernelILj1024EfllEEvT2_PKT1_PKS1_PKT0_21rocsparse_index_base_b20rocsparse_diag_type_S4_PS1_PS7_SA_
    .private_segment_fixed_size: 0
    .sgpr_count:     22
    .sgpr_spill_count: 0
    .symbol:         _ZN9rocsparseL28internal_extract_fill_kernelILj1024EfllEEvT2_PKT1_PKS1_PKT0_21rocsparse_index_base_b20rocsparse_diag_type_S4_PS1_PS7_SA_.kd
    .uniform_work_group_size: 1
    .uses_dynamic_stack: false
    .vgpr_count:     21
    .vgpr_spill_count: 0
    .wavefront_size: 32
  - .args:
      - .offset:         0
        .size:           4
        .value_kind:     by_value
      - .actual_access:  read_only
        .address_space:  global
        .offset:         8
        .size:           8
        .value_kind:     global_buffer
      - .actual_access:  read_only
        .address_space:  global
        .offset:         16
        .size:           8
        .value_kind:     global_buffer
      - .actual_access:  read_only
        .address_space:  global
        .offset:         24
        .size:           8
        .value_kind:     global_buffer
      - .offset:         32
        .size:           4
        .value_kind:     by_value
      - .offset:         36
        .size:           1
        .value_kind:     by_value
      - .offset:         40
        .size:           4
        .value_kind:     by_value
      - .actual_access:  read_only
        .address_space:  global
        .offset:         48
        .size:           8
        .value_kind:     global_buffer
      - .actual_access:  write_only
        .address_space:  global
        .offset:         56
        .size:           8
        .value_kind:     global_buffer
      - .actual_access:  write_only
        .address_space:  global
        .offset:         64
        .size:           8
        .value_kind:     global_buffer
      - .offset:         72
        .size:           4
        .value_kind:     by_value
      - .offset:         80
        .size:           4
        .value_kind:     hidden_block_count_x
      - .offset:         84
        .size:           4
        .value_kind:     hidden_block_count_y
      - .offset:         88
        .size:           4
        .value_kind:     hidden_block_count_z
      - .offset:         92
        .size:           2
        .value_kind:     hidden_group_size_x
      - .offset:         94
        .size:           2
        .value_kind:     hidden_group_size_y
      - .offset:         96
        .size:           2
        .value_kind:     hidden_group_size_z
      - .offset:         98
        .size:           2
        .value_kind:     hidden_remainder_x
      - .offset:         100
        .size:           2
        .value_kind:     hidden_remainder_y
      - .offset:         102
        .size:           2
        .value_kind:     hidden_remainder_z
      - .offset:         120
        .size:           8
        .value_kind:     hidden_global_offset_x
      - .offset:         128
        .size:           8
        .value_kind:     hidden_global_offset_y
      - .offset:         136
        .size:           8
        .value_kind:     hidden_global_offset_z
      - .offset:         144
        .size:           2
        .value_kind:     hidden_grid_dims
    .group_segment_fixed_size: 0
    .kernarg_segment_align: 8
    .kernarg_segment_size: 336
    .language:       OpenCL C
    .language_version:
      - 2
      - 0
    .max_flat_workgroup_size: 1024
    .name:           _ZN9rocsparseL28internal_extract_fill_kernelILj1024EdiiEEvT2_PKT1_PKS1_PKT0_21rocsparse_index_base_b20rocsparse_diag_type_S4_PS1_PS7_SA_
    .private_segment_fixed_size: 0
    .sgpr_count:     22
    .sgpr_spill_count: 0
    .symbol:         _ZN9rocsparseL28internal_extract_fill_kernelILj1024EdiiEEvT2_PKT1_PKS1_PKT0_21rocsparse_index_base_b20rocsparse_diag_type_S4_PS1_PS7_SA_.kd
    .uniform_work_group_size: 1
    .uses_dynamic_stack: false
    .vgpr_count:     12
    .vgpr_spill_count: 0
    .wavefront_size: 32
  - .args:
      - .offset:         0
        .size:           8
        .value_kind:     by_value
      - .actual_access:  read_only
        .address_space:  global
        .offset:         8
        .size:           8
        .value_kind:     global_buffer
      - .actual_access:  read_only
        .address_space:  global
        .offset:         16
        .size:           8
        .value_kind:     global_buffer
      - .actual_access:  read_only
        .address_space:  global
        .offset:         24
        .size:           8
        .value_kind:     global_buffer
      - .offset:         32
        .size:           4
        .value_kind:     by_value
      - .offset:         36
        .size:           1
        .value_kind:     by_value
      - .offset:         40
        .size:           4
        .value_kind:     by_value
      - .actual_access:  read_only
        .address_space:  global
        .offset:         48
        .size:           8
        .value_kind:     global_buffer
      - .actual_access:  write_only
        .address_space:  global
        .offset:         56
        .size:           8
        .value_kind:     global_buffer
      - .actual_access:  write_only
        .address_space:  global
        .offset:         64
        .size:           8
        .value_kind:     global_buffer
      - .offset:         72
        .size:           4
        .value_kind:     by_value
      - .offset:         80
        .size:           4
        .value_kind:     hidden_block_count_x
      - .offset:         84
        .size:           4
        .value_kind:     hidden_block_count_y
      - .offset:         88
        .size:           4
        .value_kind:     hidden_block_count_z
      - .offset:         92
        .size:           2
        .value_kind:     hidden_group_size_x
      - .offset:         94
        .size:           2
        .value_kind:     hidden_group_size_y
      - .offset:         96
        .size:           2
        .value_kind:     hidden_group_size_z
      - .offset:         98
        .size:           2
        .value_kind:     hidden_remainder_x
      - .offset:         100
        .size:           2
        .value_kind:     hidden_remainder_y
      - .offset:         102
        .size:           2
        .value_kind:     hidden_remainder_z
      - .offset:         120
        .size:           8
        .value_kind:     hidden_global_offset_x
      - .offset:         128
        .size:           8
        .value_kind:     hidden_global_offset_y
      - .offset:         136
        .size:           8
        .value_kind:     hidden_global_offset_z
      - .offset:         144
        .size:           2
        .value_kind:     hidden_grid_dims
    .group_segment_fixed_size: 0
    .kernarg_segment_align: 8
    .kernarg_segment_size: 336
    .language:       OpenCL C
    .language_version:
      - 2
      - 0
    .max_flat_workgroup_size: 1024
    .name:           _ZN9rocsparseL28internal_extract_fill_kernelILj1024EdilEEvT2_PKT1_PKS1_PKT0_21rocsparse_index_base_b20rocsparse_diag_type_S4_PS1_PS7_SA_
    .private_segment_fixed_size: 0
    .sgpr_count:     22
    .sgpr_spill_count: 0
    .symbol:         _ZN9rocsparseL28internal_extract_fill_kernelILj1024EdilEEvT2_PKT1_PKS1_PKT0_21rocsparse_index_base_b20rocsparse_diag_type_S4_PS1_PS7_SA_.kd
    .uniform_work_group_size: 1
    .uses_dynamic_stack: false
    .vgpr_count:     14
    .vgpr_spill_count: 0
    .wavefront_size: 32
  - .args:
      - .offset:         0
        .size:           4
        .value_kind:     by_value
      - .actual_access:  read_only
        .address_space:  global
        .offset:         8
        .size:           8
        .value_kind:     global_buffer
      - .actual_access:  read_only
        .address_space:  global
        .offset:         16
        .size:           8
        .value_kind:     global_buffer
      - .actual_access:  read_only
        .address_space:  global
        .offset:         24
        .size:           8
        .value_kind:     global_buffer
      - .offset:         32
        .size:           4
        .value_kind:     by_value
      - .offset:         36
        .size:           1
        .value_kind:     by_value
      - .offset:         40
        .size:           4
        .value_kind:     by_value
      - .actual_access:  read_only
        .address_space:  global
        .offset:         48
        .size:           8
        .value_kind:     global_buffer
      - .actual_access:  write_only
        .address_space:  global
        .offset:         56
        .size:           8
        .value_kind:     global_buffer
      - .actual_access:  write_only
        .address_space:  global
        .offset:         64
        .size:           8
        .value_kind:     global_buffer
      - .offset:         72
        .size:           4
        .value_kind:     by_value
      - .offset:         80
        .size:           4
        .value_kind:     hidden_block_count_x
      - .offset:         84
        .size:           4
        .value_kind:     hidden_block_count_y
      - .offset:         88
        .size:           4
        .value_kind:     hidden_block_count_z
      - .offset:         92
        .size:           2
        .value_kind:     hidden_group_size_x
      - .offset:         94
        .size:           2
        .value_kind:     hidden_group_size_y
      - .offset:         96
        .size:           2
        .value_kind:     hidden_group_size_z
      - .offset:         98
        .size:           2
        .value_kind:     hidden_remainder_x
      - .offset:         100
        .size:           2
        .value_kind:     hidden_remainder_y
      - .offset:         102
        .size:           2
        .value_kind:     hidden_remainder_z
      - .offset:         120
        .size:           8
        .value_kind:     hidden_global_offset_x
      - .offset:         128
        .size:           8
        .value_kind:     hidden_global_offset_y
      - .offset:         136
        .size:           8
        .value_kind:     hidden_global_offset_z
      - .offset:         144
        .size:           2
        .value_kind:     hidden_grid_dims
    .group_segment_fixed_size: 0
    .kernarg_segment_align: 8
    .kernarg_segment_size: 336
    .language:       OpenCL C
    .language_version:
      - 2
      - 0
    .max_flat_workgroup_size: 1024
    .name:           _ZN9rocsparseL28internal_extract_fill_kernelILj1024EdliEEvT2_PKT1_PKS1_PKT0_21rocsparse_index_base_b20rocsparse_diag_type_S4_PS1_PS7_SA_
    .private_segment_fixed_size: 0
    .sgpr_count:     22
    .sgpr_spill_count: 0
    .symbol:         _ZN9rocsparseL28internal_extract_fill_kernelILj1024EdliEEvT2_PKT1_PKS1_PKT0_21rocsparse_index_base_b20rocsparse_diag_type_S4_PS1_PS7_SA_.kd
    .uniform_work_group_size: 1
    .uses_dynamic_stack: false
    .vgpr_count:     20
    .vgpr_spill_count: 0
    .wavefront_size: 32
  - .args:
      - .offset:         0
        .size:           8
        .value_kind:     by_value
      - .actual_access:  read_only
        .address_space:  global
        .offset:         8
        .size:           8
        .value_kind:     global_buffer
      - .actual_access:  read_only
        .address_space:  global
        .offset:         16
        .size:           8
        .value_kind:     global_buffer
      - .actual_access:  read_only
        .address_space:  global
        .offset:         24
        .size:           8
        .value_kind:     global_buffer
      - .offset:         32
        .size:           4
        .value_kind:     by_value
      - .offset:         36
        .size:           1
        .value_kind:     by_value
      - .offset:         40
        .size:           4
        .value_kind:     by_value
      - .actual_access:  read_only
        .address_space:  global
        .offset:         48
        .size:           8
        .value_kind:     global_buffer
      - .actual_access:  write_only
        .address_space:  global
        .offset:         56
        .size:           8
        .value_kind:     global_buffer
      - .actual_access:  write_only
        .address_space:  global
        .offset:         64
        .size:           8
        .value_kind:     global_buffer
      - .offset:         72
        .size:           4
        .value_kind:     by_value
      - .offset:         80
        .size:           4
        .value_kind:     hidden_block_count_x
      - .offset:         84
        .size:           4
        .value_kind:     hidden_block_count_y
      - .offset:         88
        .size:           4
        .value_kind:     hidden_block_count_z
      - .offset:         92
        .size:           2
        .value_kind:     hidden_group_size_x
      - .offset:         94
        .size:           2
        .value_kind:     hidden_group_size_y
      - .offset:         96
        .size:           2
        .value_kind:     hidden_group_size_z
      - .offset:         98
        .size:           2
        .value_kind:     hidden_remainder_x
      - .offset:         100
        .size:           2
        .value_kind:     hidden_remainder_y
      - .offset:         102
        .size:           2
        .value_kind:     hidden_remainder_z
      - .offset:         120
        .size:           8
        .value_kind:     hidden_global_offset_x
      - .offset:         128
        .size:           8
        .value_kind:     hidden_global_offset_y
      - .offset:         136
        .size:           8
        .value_kind:     hidden_global_offset_z
      - .offset:         144
        .size:           2
        .value_kind:     hidden_grid_dims
    .group_segment_fixed_size: 0
    .kernarg_segment_align: 8
    .kernarg_segment_size: 336
    .language:       OpenCL C
    .language_version:
      - 2
      - 0
    .max_flat_workgroup_size: 1024
    .name:           _ZN9rocsparseL28internal_extract_fill_kernelILj1024EdllEEvT2_PKT1_PKS1_PKT0_21rocsparse_index_base_b20rocsparse_diag_type_S4_PS1_PS7_SA_
    .private_segment_fixed_size: 0
    .sgpr_count:     21
    .sgpr_spill_count: 0
    .symbol:         _ZN9rocsparseL28internal_extract_fill_kernelILj1024EdllEEvT2_PKT1_PKS1_PKT0_21rocsparse_index_base_b20rocsparse_diag_type_S4_PS1_PS7_SA_.kd
    .uniform_work_group_size: 1
    .uses_dynamic_stack: false
    .vgpr_count:     20
    .vgpr_spill_count: 0
    .wavefront_size: 32
  - .args:
      - .offset:         0
        .size:           4
        .value_kind:     by_value
      - .actual_access:  read_only
        .address_space:  global
        .offset:         8
        .size:           8
        .value_kind:     global_buffer
      - .actual_access:  read_only
        .address_space:  global
        .offset:         16
        .size:           8
        .value_kind:     global_buffer
      - .actual_access:  read_only
        .address_space:  global
        .offset:         24
        .size:           8
        .value_kind:     global_buffer
      - .offset:         32
        .size:           4
        .value_kind:     by_value
      - .offset:         36
        .size:           1
        .value_kind:     by_value
      - .offset:         40
        .size:           4
        .value_kind:     by_value
      - .actual_access:  read_only
        .address_space:  global
        .offset:         48
        .size:           8
        .value_kind:     global_buffer
      - .actual_access:  write_only
        .address_space:  global
        .offset:         56
        .size:           8
        .value_kind:     global_buffer
      - .actual_access:  write_only
        .address_space:  global
        .offset:         64
        .size:           8
        .value_kind:     global_buffer
      - .offset:         72
        .size:           4
        .value_kind:     by_value
      - .offset:         80
        .size:           4
        .value_kind:     hidden_block_count_x
      - .offset:         84
        .size:           4
        .value_kind:     hidden_block_count_y
      - .offset:         88
        .size:           4
        .value_kind:     hidden_block_count_z
      - .offset:         92
        .size:           2
        .value_kind:     hidden_group_size_x
      - .offset:         94
        .size:           2
        .value_kind:     hidden_group_size_y
      - .offset:         96
        .size:           2
        .value_kind:     hidden_group_size_z
      - .offset:         98
        .size:           2
        .value_kind:     hidden_remainder_x
      - .offset:         100
        .size:           2
        .value_kind:     hidden_remainder_y
      - .offset:         102
        .size:           2
        .value_kind:     hidden_remainder_z
      - .offset:         120
        .size:           8
        .value_kind:     hidden_global_offset_x
      - .offset:         128
        .size:           8
        .value_kind:     hidden_global_offset_y
      - .offset:         136
        .size:           8
        .value_kind:     hidden_global_offset_z
      - .offset:         144
        .size:           2
        .value_kind:     hidden_grid_dims
    .group_segment_fixed_size: 0
    .kernarg_segment_align: 8
    .kernarg_segment_size: 336
    .language:       OpenCL C
    .language_version:
      - 2
      - 0
    .max_flat_workgroup_size: 1024
    .name:           _ZN9rocsparseL28internal_extract_fill_kernelILj1024E21rocsparse_complex_numIfEiiEEvT2_PKT1_PKS3_PKT0_21rocsparse_index_base_b20rocsparse_diag_type_S6_PS3_PS9_SC_
    .private_segment_fixed_size: 0
    .sgpr_count:     22
    .sgpr_spill_count: 0
    .symbol:         _ZN9rocsparseL28internal_extract_fill_kernelILj1024E21rocsparse_complex_numIfEiiEEvT2_PKT1_PKS3_PKT0_21rocsparse_index_base_b20rocsparse_diag_type_S6_PS3_PS9_SC_.kd
    .uniform_work_group_size: 1
    .uses_dynamic_stack: false
    .vgpr_count:     12
    .vgpr_spill_count: 0
    .wavefront_size: 32
  - .args:
      - .offset:         0
        .size:           8
        .value_kind:     by_value
      - .actual_access:  read_only
        .address_space:  global
        .offset:         8
        .size:           8
        .value_kind:     global_buffer
      - .actual_access:  read_only
        .address_space:  global
        .offset:         16
        .size:           8
        .value_kind:     global_buffer
      - .actual_access:  read_only
        .address_space:  global
        .offset:         24
        .size:           8
        .value_kind:     global_buffer
      - .offset:         32
        .size:           4
        .value_kind:     by_value
      - .offset:         36
        .size:           1
        .value_kind:     by_value
      - .offset:         40
        .size:           4
        .value_kind:     by_value
      - .actual_access:  read_only
        .address_space:  global
        .offset:         48
        .size:           8
        .value_kind:     global_buffer
      - .actual_access:  write_only
        .address_space:  global
        .offset:         56
        .size:           8
        .value_kind:     global_buffer
      - .actual_access:  write_only
        .address_space:  global
        .offset:         64
        .size:           8
        .value_kind:     global_buffer
      - .offset:         72
        .size:           4
        .value_kind:     by_value
      - .offset:         80
        .size:           4
        .value_kind:     hidden_block_count_x
      - .offset:         84
        .size:           4
        .value_kind:     hidden_block_count_y
      - .offset:         88
        .size:           4
        .value_kind:     hidden_block_count_z
      - .offset:         92
        .size:           2
        .value_kind:     hidden_group_size_x
      - .offset:         94
        .size:           2
        .value_kind:     hidden_group_size_y
      - .offset:         96
        .size:           2
        .value_kind:     hidden_group_size_z
      - .offset:         98
        .size:           2
        .value_kind:     hidden_remainder_x
      - .offset:         100
        .size:           2
        .value_kind:     hidden_remainder_y
      - .offset:         102
        .size:           2
        .value_kind:     hidden_remainder_z
      - .offset:         120
        .size:           8
        .value_kind:     hidden_global_offset_x
      - .offset:         128
        .size:           8
        .value_kind:     hidden_global_offset_y
      - .offset:         136
        .size:           8
        .value_kind:     hidden_global_offset_z
      - .offset:         144
        .size:           2
        .value_kind:     hidden_grid_dims
    .group_segment_fixed_size: 0
    .kernarg_segment_align: 8
    .kernarg_segment_size: 336
    .language:       OpenCL C
    .language_version:
      - 2
      - 0
    .max_flat_workgroup_size: 1024
    .name:           _ZN9rocsparseL28internal_extract_fill_kernelILj1024E21rocsparse_complex_numIfEilEEvT2_PKT1_PKS3_PKT0_21rocsparse_index_base_b20rocsparse_diag_type_S6_PS3_PS9_SC_
    .private_segment_fixed_size: 0
    .sgpr_count:     22
    .sgpr_spill_count: 0
    .symbol:         _ZN9rocsparseL28internal_extract_fill_kernelILj1024E21rocsparse_complex_numIfEilEEvT2_PKT1_PKS3_PKT0_21rocsparse_index_base_b20rocsparse_diag_type_S6_PS3_PS9_SC_.kd
    .uniform_work_group_size: 1
    .uses_dynamic_stack: false
    .vgpr_count:     14
    .vgpr_spill_count: 0
    .wavefront_size: 32
  - .args:
      - .offset:         0
        .size:           4
        .value_kind:     by_value
      - .actual_access:  read_only
        .address_space:  global
        .offset:         8
        .size:           8
        .value_kind:     global_buffer
      - .actual_access:  read_only
        .address_space:  global
        .offset:         16
        .size:           8
        .value_kind:     global_buffer
      - .actual_access:  read_only
        .address_space:  global
        .offset:         24
        .size:           8
        .value_kind:     global_buffer
      - .offset:         32
        .size:           4
        .value_kind:     by_value
      - .offset:         36
        .size:           1
        .value_kind:     by_value
      - .offset:         40
        .size:           4
        .value_kind:     by_value
      - .actual_access:  read_only
        .address_space:  global
        .offset:         48
        .size:           8
        .value_kind:     global_buffer
      - .actual_access:  write_only
        .address_space:  global
        .offset:         56
        .size:           8
        .value_kind:     global_buffer
      - .actual_access:  write_only
        .address_space:  global
        .offset:         64
        .size:           8
        .value_kind:     global_buffer
      - .offset:         72
        .size:           4
        .value_kind:     by_value
      - .offset:         80
        .size:           4
        .value_kind:     hidden_block_count_x
      - .offset:         84
        .size:           4
        .value_kind:     hidden_block_count_y
      - .offset:         88
        .size:           4
        .value_kind:     hidden_block_count_z
      - .offset:         92
        .size:           2
        .value_kind:     hidden_group_size_x
      - .offset:         94
        .size:           2
        .value_kind:     hidden_group_size_y
      - .offset:         96
        .size:           2
        .value_kind:     hidden_group_size_z
      - .offset:         98
        .size:           2
        .value_kind:     hidden_remainder_x
      - .offset:         100
        .size:           2
        .value_kind:     hidden_remainder_y
      - .offset:         102
        .size:           2
        .value_kind:     hidden_remainder_z
      - .offset:         120
        .size:           8
        .value_kind:     hidden_global_offset_x
      - .offset:         128
        .size:           8
        .value_kind:     hidden_global_offset_y
      - .offset:         136
        .size:           8
        .value_kind:     hidden_global_offset_z
      - .offset:         144
        .size:           2
        .value_kind:     hidden_grid_dims
    .group_segment_fixed_size: 0
    .kernarg_segment_align: 8
    .kernarg_segment_size: 336
    .language:       OpenCL C
    .language_version:
      - 2
      - 0
    .max_flat_workgroup_size: 1024
    .name:           _ZN9rocsparseL28internal_extract_fill_kernelILj1024E21rocsparse_complex_numIfEliEEvT2_PKT1_PKS3_PKT0_21rocsparse_index_base_b20rocsparse_diag_type_S6_PS3_PS9_SC_
    .private_segment_fixed_size: 0
    .sgpr_count:     22
    .sgpr_spill_count: 0
    .symbol:         _ZN9rocsparseL28internal_extract_fill_kernelILj1024E21rocsparse_complex_numIfEliEEvT2_PKT1_PKS3_PKT0_21rocsparse_index_base_b20rocsparse_diag_type_S6_PS3_PS9_SC_.kd
    .uniform_work_group_size: 1
    .uses_dynamic_stack: false
    .vgpr_count:     20
    .vgpr_spill_count: 0
    .wavefront_size: 32
  - .args:
      - .offset:         0
        .size:           8
        .value_kind:     by_value
      - .actual_access:  read_only
        .address_space:  global
        .offset:         8
        .size:           8
        .value_kind:     global_buffer
      - .actual_access:  read_only
        .address_space:  global
        .offset:         16
        .size:           8
        .value_kind:     global_buffer
      - .actual_access:  read_only
        .address_space:  global
        .offset:         24
        .size:           8
        .value_kind:     global_buffer
      - .offset:         32
        .size:           4
        .value_kind:     by_value
      - .offset:         36
        .size:           1
        .value_kind:     by_value
      - .offset:         40
        .size:           4
        .value_kind:     by_value
      - .actual_access:  read_only
        .address_space:  global
        .offset:         48
        .size:           8
        .value_kind:     global_buffer
      - .actual_access:  write_only
        .address_space:  global
        .offset:         56
        .size:           8
        .value_kind:     global_buffer
      - .actual_access:  write_only
        .address_space:  global
        .offset:         64
        .size:           8
        .value_kind:     global_buffer
      - .offset:         72
        .size:           4
        .value_kind:     by_value
      - .offset:         80
        .size:           4
        .value_kind:     hidden_block_count_x
      - .offset:         84
        .size:           4
        .value_kind:     hidden_block_count_y
      - .offset:         88
        .size:           4
        .value_kind:     hidden_block_count_z
      - .offset:         92
        .size:           2
        .value_kind:     hidden_group_size_x
      - .offset:         94
        .size:           2
        .value_kind:     hidden_group_size_y
      - .offset:         96
        .size:           2
        .value_kind:     hidden_group_size_z
      - .offset:         98
        .size:           2
        .value_kind:     hidden_remainder_x
      - .offset:         100
        .size:           2
        .value_kind:     hidden_remainder_y
      - .offset:         102
        .size:           2
        .value_kind:     hidden_remainder_z
      - .offset:         120
        .size:           8
        .value_kind:     hidden_global_offset_x
      - .offset:         128
        .size:           8
        .value_kind:     hidden_global_offset_y
      - .offset:         136
        .size:           8
        .value_kind:     hidden_global_offset_z
      - .offset:         144
        .size:           2
        .value_kind:     hidden_grid_dims
    .group_segment_fixed_size: 0
    .kernarg_segment_align: 8
    .kernarg_segment_size: 336
    .language:       OpenCL C
    .language_version:
      - 2
      - 0
    .max_flat_workgroup_size: 1024
    .name:           _ZN9rocsparseL28internal_extract_fill_kernelILj1024E21rocsparse_complex_numIfEllEEvT2_PKT1_PKS3_PKT0_21rocsparse_index_base_b20rocsparse_diag_type_S6_PS3_PS9_SC_
    .private_segment_fixed_size: 0
    .sgpr_count:     21
    .sgpr_spill_count: 0
    .symbol:         _ZN9rocsparseL28internal_extract_fill_kernelILj1024E21rocsparse_complex_numIfEllEEvT2_PKT1_PKS3_PKT0_21rocsparse_index_base_b20rocsparse_diag_type_S6_PS3_PS9_SC_.kd
    .uniform_work_group_size: 1
    .uses_dynamic_stack: false
    .vgpr_count:     20
    .vgpr_spill_count: 0
    .wavefront_size: 32
  - .args:
      - .offset:         0
        .size:           4
        .value_kind:     by_value
      - .actual_access:  read_only
        .address_space:  global
        .offset:         8
        .size:           8
        .value_kind:     global_buffer
      - .actual_access:  read_only
        .address_space:  global
        .offset:         16
        .size:           8
        .value_kind:     global_buffer
      - .actual_access:  read_only
        .address_space:  global
        .offset:         24
        .size:           8
        .value_kind:     global_buffer
      - .offset:         32
        .size:           4
        .value_kind:     by_value
      - .offset:         36
        .size:           1
        .value_kind:     by_value
      - .offset:         40
        .size:           4
        .value_kind:     by_value
      - .actual_access:  read_only
        .address_space:  global
        .offset:         48
        .size:           8
        .value_kind:     global_buffer
      - .actual_access:  write_only
        .address_space:  global
        .offset:         56
        .size:           8
        .value_kind:     global_buffer
      - .actual_access:  write_only
        .address_space:  global
        .offset:         64
        .size:           8
        .value_kind:     global_buffer
      - .offset:         72
        .size:           4
        .value_kind:     by_value
      - .offset:         80
        .size:           4
        .value_kind:     hidden_block_count_x
      - .offset:         84
        .size:           4
        .value_kind:     hidden_block_count_y
      - .offset:         88
        .size:           4
        .value_kind:     hidden_block_count_z
      - .offset:         92
        .size:           2
        .value_kind:     hidden_group_size_x
      - .offset:         94
        .size:           2
        .value_kind:     hidden_group_size_y
      - .offset:         96
        .size:           2
        .value_kind:     hidden_group_size_z
      - .offset:         98
        .size:           2
        .value_kind:     hidden_remainder_x
      - .offset:         100
        .size:           2
        .value_kind:     hidden_remainder_y
      - .offset:         102
        .size:           2
        .value_kind:     hidden_remainder_z
      - .offset:         120
        .size:           8
        .value_kind:     hidden_global_offset_x
      - .offset:         128
        .size:           8
        .value_kind:     hidden_global_offset_y
      - .offset:         136
        .size:           8
        .value_kind:     hidden_global_offset_z
      - .offset:         144
        .size:           2
        .value_kind:     hidden_grid_dims
    .group_segment_fixed_size: 0
    .kernarg_segment_align: 8
    .kernarg_segment_size: 336
    .language:       OpenCL C
    .language_version:
      - 2
      - 0
    .max_flat_workgroup_size: 1024
    .name:           _ZN9rocsparseL28internal_extract_fill_kernelILj1024E21rocsparse_complex_numIdEiiEEvT2_PKT1_PKS3_PKT0_21rocsparse_index_base_b20rocsparse_diag_type_S6_PS3_PS9_SC_
    .private_segment_fixed_size: 0
    .sgpr_count:     22
    .sgpr_spill_count: 0
    .symbol:         _ZN9rocsparseL28internal_extract_fill_kernelILj1024E21rocsparse_complex_numIdEiiEEvT2_PKT1_PKS3_PKT0_21rocsparse_index_base_b20rocsparse_diag_type_S6_PS3_PS9_SC_.kd
    .uniform_work_group_size: 1
    .uses_dynamic_stack: false
    .vgpr_count:     14
    .vgpr_spill_count: 0
    .wavefront_size: 32
  - .args:
      - .offset:         0
        .size:           8
        .value_kind:     by_value
      - .actual_access:  read_only
        .address_space:  global
        .offset:         8
        .size:           8
        .value_kind:     global_buffer
      - .actual_access:  read_only
        .address_space:  global
        .offset:         16
        .size:           8
        .value_kind:     global_buffer
      - .actual_access:  read_only
        .address_space:  global
        .offset:         24
        .size:           8
        .value_kind:     global_buffer
      - .offset:         32
        .size:           4
        .value_kind:     by_value
      - .offset:         36
        .size:           1
        .value_kind:     by_value
      - .offset:         40
        .size:           4
        .value_kind:     by_value
      - .actual_access:  read_only
        .address_space:  global
        .offset:         48
        .size:           8
        .value_kind:     global_buffer
      - .actual_access:  write_only
        .address_space:  global
        .offset:         56
        .size:           8
        .value_kind:     global_buffer
      - .actual_access:  write_only
        .address_space:  global
        .offset:         64
        .size:           8
        .value_kind:     global_buffer
      - .offset:         72
        .size:           4
        .value_kind:     by_value
      - .offset:         80
        .size:           4
        .value_kind:     hidden_block_count_x
      - .offset:         84
        .size:           4
        .value_kind:     hidden_block_count_y
      - .offset:         88
        .size:           4
        .value_kind:     hidden_block_count_z
      - .offset:         92
        .size:           2
        .value_kind:     hidden_group_size_x
      - .offset:         94
        .size:           2
        .value_kind:     hidden_group_size_y
      - .offset:         96
        .size:           2
        .value_kind:     hidden_group_size_z
      - .offset:         98
        .size:           2
        .value_kind:     hidden_remainder_x
      - .offset:         100
        .size:           2
        .value_kind:     hidden_remainder_y
      - .offset:         102
        .size:           2
        .value_kind:     hidden_remainder_z
      - .offset:         120
        .size:           8
        .value_kind:     hidden_global_offset_x
      - .offset:         128
        .size:           8
        .value_kind:     hidden_global_offset_y
      - .offset:         136
        .size:           8
        .value_kind:     hidden_global_offset_z
      - .offset:         144
        .size:           2
        .value_kind:     hidden_grid_dims
    .group_segment_fixed_size: 0
    .kernarg_segment_align: 8
    .kernarg_segment_size: 336
    .language:       OpenCL C
    .language_version:
      - 2
      - 0
    .max_flat_workgroup_size: 1024
    .name:           _ZN9rocsparseL28internal_extract_fill_kernelILj1024E21rocsparse_complex_numIdEilEEvT2_PKT1_PKS3_PKT0_21rocsparse_index_base_b20rocsparse_diag_type_S6_PS3_PS9_SC_
    .private_segment_fixed_size: 0
    .sgpr_count:     22
    .sgpr_spill_count: 0
    .symbol:         _ZN9rocsparseL28internal_extract_fill_kernelILj1024E21rocsparse_complex_numIdEilEEvT2_PKT1_PKS3_PKT0_21rocsparse_index_base_b20rocsparse_diag_type_S6_PS3_PS9_SC_.kd
    .uniform_work_group_size: 1
    .uses_dynamic_stack: false
    .vgpr_count:     16
    .vgpr_spill_count: 0
    .wavefront_size: 32
  - .args:
      - .offset:         0
        .size:           4
        .value_kind:     by_value
      - .actual_access:  read_only
        .address_space:  global
        .offset:         8
        .size:           8
        .value_kind:     global_buffer
      - .actual_access:  read_only
        .address_space:  global
        .offset:         16
        .size:           8
        .value_kind:     global_buffer
      - .actual_access:  read_only
        .address_space:  global
        .offset:         24
        .size:           8
        .value_kind:     global_buffer
      - .offset:         32
        .size:           4
        .value_kind:     by_value
      - .offset:         36
        .size:           1
        .value_kind:     by_value
      - .offset:         40
        .size:           4
        .value_kind:     by_value
      - .actual_access:  read_only
        .address_space:  global
        .offset:         48
        .size:           8
        .value_kind:     global_buffer
      - .actual_access:  write_only
        .address_space:  global
        .offset:         56
        .size:           8
        .value_kind:     global_buffer
      - .actual_access:  write_only
        .address_space:  global
        .offset:         64
        .size:           8
        .value_kind:     global_buffer
      - .offset:         72
        .size:           4
        .value_kind:     by_value
      - .offset:         80
        .size:           4
        .value_kind:     hidden_block_count_x
      - .offset:         84
        .size:           4
        .value_kind:     hidden_block_count_y
      - .offset:         88
        .size:           4
        .value_kind:     hidden_block_count_z
      - .offset:         92
        .size:           2
        .value_kind:     hidden_group_size_x
      - .offset:         94
        .size:           2
        .value_kind:     hidden_group_size_y
      - .offset:         96
        .size:           2
        .value_kind:     hidden_group_size_z
      - .offset:         98
        .size:           2
        .value_kind:     hidden_remainder_x
      - .offset:         100
        .size:           2
        .value_kind:     hidden_remainder_y
      - .offset:         102
        .size:           2
        .value_kind:     hidden_remainder_z
      - .offset:         120
        .size:           8
        .value_kind:     hidden_global_offset_x
      - .offset:         128
        .size:           8
        .value_kind:     hidden_global_offset_y
      - .offset:         136
        .size:           8
        .value_kind:     hidden_global_offset_z
      - .offset:         144
        .size:           2
        .value_kind:     hidden_grid_dims
    .group_segment_fixed_size: 0
    .kernarg_segment_align: 8
    .kernarg_segment_size: 336
    .language:       OpenCL C
    .language_version:
      - 2
      - 0
    .max_flat_workgroup_size: 1024
    .name:           _ZN9rocsparseL28internal_extract_fill_kernelILj1024E21rocsparse_complex_numIdEliEEvT2_PKT1_PKS3_PKT0_21rocsparse_index_base_b20rocsparse_diag_type_S6_PS3_PS9_SC_
    .private_segment_fixed_size: 0
    .sgpr_count:     22
    .sgpr_spill_count: 0
    .symbol:         _ZN9rocsparseL28internal_extract_fill_kernelILj1024E21rocsparse_complex_numIdEliEEvT2_PKT1_PKS3_PKT0_21rocsparse_index_base_b20rocsparse_diag_type_S6_PS3_PS9_SC_.kd
    .uniform_work_group_size: 1
    .uses_dynamic_stack: false
    .vgpr_count:     22
    .vgpr_spill_count: 0
    .wavefront_size: 32
  - .args:
      - .offset:         0
        .size:           8
        .value_kind:     by_value
      - .actual_access:  read_only
        .address_space:  global
        .offset:         8
        .size:           8
        .value_kind:     global_buffer
      - .actual_access:  read_only
        .address_space:  global
        .offset:         16
        .size:           8
        .value_kind:     global_buffer
      - .actual_access:  read_only
        .address_space:  global
        .offset:         24
        .size:           8
        .value_kind:     global_buffer
      - .offset:         32
        .size:           4
        .value_kind:     by_value
      - .offset:         36
        .size:           1
        .value_kind:     by_value
      - .offset:         40
        .size:           4
        .value_kind:     by_value
      - .actual_access:  read_only
        .address_space:  global
        .offset:         48
        .size:           8
        .value_kind:     global_buffer
      - .actual_access:  write_only
        .address_space:  global
        .offset:         56
        .size:           8
        .value_kind:     global_buffer
      - .actual_access:  write_only
        .address_space:  global
        .offset:         64
        .size:           8
        .value_kind:     global_buffer
      - .offset:         72
        .size:           4
        .value_kind:     by_value
      - .offset:         80
        .size:           4
        .value_kind:     hidden_block_count_x
      - .offset:         84
        .size:           4
        .value_kind:     hidden_block_count_y
      - .offset:         88
        .size:           4
        .value_kind:     hidden_block_count_z
      - .offset:         92
        .size:           2
        .value_kind:     hidden_group_size_x
      - .offset:         94
        .size:           2
        .value_kind:     hidden_group_size_y
      - .offset:         96
        .size:           2
        .value_kind:     hidden_group_size_z
      - .offset:         98
        .size:           2
        .value_kind:     hidden_remainder_x
      - .offset:         100
        .size:           2
        .value_kind:     hidden_remainder_y
      - .offset:         102
        .size:           2
        .value_kind:     hidden_remainder_z
      - .offset:         120
        .size:           8
        .value_kind:     hidden_global_offset_x
      - .offset:         128
        .size:           8
        .value_kind:     hidden_global_offset_y
      - .offset:         136
        .size:           8
        .value_kind:     hidden_global_offset_z
      - .offset:         144
        .size:           2
        .value_kind:     hidden_grid_dims
    .group_segment_fixed_size: 0
    .kernarg_segment_align: 8
    .kernarg_segment_size: 336
    .language:       OpenCL C
    .language_version:
      - 2
      - 0
    .max_flat_workgroup_size: 1024
    .name:           _ZN9rocsparseL28internal_extract_fill_kernelILj1024E21rocsparse_complex_numIdEllEEvT2_PKT1_PKS3_PKT0_21rocsparse_index_base_b20rocsparse_diag_type_S6_PS3_PS9_SC_
    .private_segment_fixed_size: 0
    .sgpr_count:     22
    .sgpr_spill_count: 0
    .symbol:         _ZN9rocsparseL28internal_extract_fill_kernelILj1024E21rocsparse_complex_numIdEllEEvT2_PKT1_PKS3_PKT0_21rocsparse_index_base_b20rocsparse_diag_type_S6_PS3_PS9_SC_.kd
    .uniform_work_group_size: 1
    .uses_dynamic_stack: false
    .vgpr_count:     24
    .vgpr_spill_count: 0
    .wavefront_size: 32
  - .args:
      - .offset:         0
        .size:           4
        .value_kind:     by_value
      - .actual_access:  read_only
        .address_space:  global
        .offset:         8
        .size:           8
        .value_kind:     global_buffer
      - .actual_access:  read_only
        .address_space:  global
        .offset:         16
        .size:           8
        .value_kind:     global_buffer
      - .actual_access:  read_only
        .address_space:  global
        .offset:         24
        .size:           8
        .value_kind:     global_buffer
      - .offset:         32
        .size:           4
        .value_kind:     by_value
      - .offset:         36
        .size:           1
        .value_kind:     by_value
      - .offset:         40
        .size:           4
        .value_kind:     by_value
      - .actual_access:  read_only
        .address_space:  global
        .offset:         48
        .size:           8
        .value_kind:     global_buffer
      - .actual_access:  write_only
        .address_space:  global
        .offset:         56
        .size:           8
        .value_kind:     global_buffer
      - .actual_access:  write_only
        .address_space:  global
        .offset:         64
        .size:           8
        .value_kind:     global_buffer
      - .offset:         72
        .size:           4
        .value_kind:     by_value
      - .offset:         80
        .size:           4
        .value_kind:     hidden_block_count_x
      - .offset:         84
        .size:           4
        .value_kind:     hidden_block_count_y
      - .offset:         88
        .size:           4
        .value_kind:     hidden_block_count_z
      - .offset:         92
        .size:           2
        .value_kind:     hidden_group_size_x
      - .offset:         94
        .size:           2
        .value_kind:     hidden_group_size_y
      - .offset:         96
        .size:           2
        .value_kind:     hidden_group_size_z
      - .offset:         98
        .size:           2
        .value_kind:     hidden_remainder_x
      - .offset:         100
        .size:           2
        .value_kind:     hidden_remainder_y
      - .offset:         102
        .size:           2
        .value_kind:     hidden_remainder_z
      - .offset:         120
        .size:           8
        .value_kind:     hidden_global_offset_x
      - .offset:         128
        .size:           8
        .value_kind:     hidden_global_offset_y
      - .offset:         136
        .size:           8
        .value_kind:     hidden_global_offset_z
      - .offset:         144
        .size:           2
        .value_kind:     hidden_grid_dims
    .group_segment_fixed_size: 0
    .kernarg_segment_align: 8
    .kernarg_segment_size: 336
    .language:       OpenCL C
    .language_version:
      - 2
      - 0
    .max_flat_workgroup_size: 1024
    .name:           _ZN9rocsparseL28internal_extract_fill_kernelILj1024EaiiEEvT2_PKT1_PKS1_PKT0_21rocsparse_index_base_b20rocsparse_diag_type_S4_PS1_PS7_SA_
    .private_segment_fixed_size: 0
    .sgpr_count:     22
    .sgpr_spill_count: 0
    .symbol:         _ZN9rocsparseL28internal_extract_fill_kernelILj1024EaiiEEvT2_PKT1_PKS1_PKT0_21rocsparse_index_base_b20rocsparse_diag_type_S4_PS1_PS7_SA_.kd
    .uniform_work_group_size: 1
    .uses_dynamic_stack: false
    .vgpr_count:     11
    .vgpr_spill_count: 0
    .wavefront_size: 32
  - .args:
      - .offset:         0
        .size:           8
        .value_kind:     by_value
      - .actual_access:  read_only
        .address_space:  global
        .offset:         8
        .size:           8
        .value_kind:     global_buffer
      - .actual_access:  read_only
        .address_space:  global
        .offset:         16
        .size:           8
        .value_kind:     global_buffer
      - .actual_access:  read_only
        .address_space:  global
        .offset:         24
        .size:           8
        .value_kind:     global_buffer
      - .offset:         32
        .size:           4
        .value_kind:     by_value
      - .offset:         36
        .size:           1
        .value_kind:     by_value
      - .offset:         40
        .size:           4
        .value_kind:     by_value
      - .actual_access:  read_only
        .address_space:  global
        .offset:         48
        .size:           8
        .value_kind:     global_buffer
      - .actual_access:  write_only
        .address_space:  global
        .offset:         56
        .size:           8
        .value_kind:     global_buffer
      - .actual_access:  write_only
        .address_space:  global
        .offset:         64
        .size:           8
        .value_kind:     global_buffer
      - .offset:         72
        .size:           4
        .value_kind:     by_value
      - .offset:         80
        .size:           4
        .value_kind:     hidden_block_count_x
      - .offset:         84
        .size:           4
        .value_kind:     hidden_block_count_y
      - .offset:         88
        .size:           4
        .value_kind:     hidden_block_count_z
      - .offset:         92
        .size:           2
        .value_kind:     hidden_group_size_x
      - .offset:         94
        .size:           2
        .value_kind:     hidden_group_size_y
      - .offset:         96
        .size:           2
        .value_kind:     hidden_group_size_z
      - .offset:         98
        .size:           2
        .value_kind:     hidden_remainder_x
      - .offset:         100
        .size:           2
        .value_kind:     hidden_remainder_y
      - .offset:         102
        .size:           2
        .value_kind:     hidden_remainder_z
      - .offset:         120
        .size:           8
        .value_kind:     hidden_global_offset_x
      - .offset:         128
        .size:           8
        .value_kind:     hidden_global_offset_y
      - .offset:         136
        .size:           8
        .value_kind:     hidden_global_offset_z
      - .offset:         144
        .size:           2
        .value_kind:     hidden_grid_dims
    .group_segment_fixed_size: 0
    .kernarg_segment_align: 8
    .kernarg_segment_size: 336
    .language:       OpenCL C
    .language_version:
      - 2
      - 0
    .max_flat_workgroup_size: 1024
    .name:           _ZN9rocsparseL28internal_extract_fill_kernelILj1024EailEEvT2_PKT1_PKS1_PKT0_21rocsparse_index_base_b20rocsparse_diag_type_S4_PS1_PS7_SA_
    .private_segment_fixed_size: 0
    .sgpr_count:     22
    .sgpr_spill_count: 0
    .symbol:         _ZN9rocsparseL28internal_extract_fill_kernelILj1024EailEEvT2_PKT1_PKS1_PKT0_21rocsparse_index_base_b20rocsparse_diag_type_S4_PS1_PS7_SA_.kd
    .uniform_work_group_size: 1
    .uses_dynamic_stack: false
    .vgpr_count:     13
    .vgpr_spill_count: 0
    .wavefront_size: 32
  - .args:
      - .offset:         0
        .size:           4
        .value_kind:     by_value
      - .actual_access:  read_only
        .address_space:  global
        .offset:         8
        .size:           8
        .value_kind:     global_buffer
      - .actual_access:  read_only
        .address_space:  global
        .offset:         16
        .size:           8
        .value_kind:     global_buffer
      - .actual_access:  read_only
        .address_space:  global
        .offset:         24
        .size:           8
        .value_kind:     global_buffer
      - .offset:         32
        .size:           4
        .value_kind:     by_value
      - .offset:         36
        .size:           1
        .value_kind:     by_value
      - .offset:         40
        .size:           4
        .value_kind:     by_value
      - .actual_access:  read_only
        .address_space:  global
        .offset:         48
        .size:           8
        .value_kind:     global_buffer
      - .actual_access:  write_only
        .address_space:  global
        .offset:         56
        .size:           8
        .value_kind:     global_buffer
      - .actual_access:  write_only
        .address_space:  global
        .offset:         64
        .size:           8
        .value_kind:     global_buffer
      - .offset:         72
        .size:           4
        .value_kind:     by_value
      - .offset:         80
        .size:           4
        .value_kind:     hidden_block_count_x
      - .offset:         84
        .size:           4
        .value_kind:     hidden_block_count_y
      - .offset:         88
        .size:           4
        .value_kind:     hidden_block_count_z
      - .offset:         92
        .size:           2
        .value_kind:     hidden_group_size_x
      - .offset:         94
        .size:           2
        .value_kind:     hidden_group_size_y
      - .offset:         96
        .size:           2
        .value_kind:     hidden_group_size_z
      - .offset:         98
        .size:           2
        .value_kind:     hidden_remainder_x
      - .offset:         100
        .size:           2
        .value_kind:     hidden_remainder_y
      - .offset:         102
        .size:           2
        .value_kind:     hidden_remainder_z
      - .offset:         120
        .size:           8
        .value_kind:     hidden_global_offset_x
      - .offset:         128
        .size:           8
        .value_kind:     hidden_global_offset_y
      - .offset:         136
        .size:           8
        .value_kind:     hidden_global_offset_z
      - .offset:         144
        .size:           2
        .value_kind:     hidden_grid_dims
    .group_segment_fixed_size: 0
    .kernarg_segment_align: 8
    .kernarg_segment_size: 336
    .language:       OpenCL C
    .language_version:
      - 2
      - 0
    .max_flat_workgroup_size: 1024
    .name:           _ZN9rocsparseL28internal_extract_fill_kernelILj1024EaliEEvT2_PKT1_PKS1_PKT0_21rocsparse_index_base_b20rocsparse_diag_type_S4_PS1_PS7_SA_
    .private_segment_fixed_size: 0
    .sgpr_count:     21
    .sgpr_spill_count: 0
    .symbol:         _ZN9rocsparseL28internal_extract_fill_kernelILj1024EaliEEvT2_PKT1_PKS1_PKT0_21rocsparse_index_base_b20rocsparse_diag_type_S4_PS1_PS7_SA_.kd
    .uniform_work_group_size: 1
    .uses_dynamic_stack: false
    .vgpr_count:     17
    .vgpr_spill_count: 0
    .wavefront_size: 32
  - .args:
      - .offset:         0
        .size:           8
        .value_kind:     by_value
      - .actual_access:  read_only
        .address_space:  global
        .offset:         8
        .size:           8
        .value_kind:     global_buffer
      - .actual_access:  read_only
        .address_space:  global
        .offset:         16
        .size:           8
        .value_kind:     global_buffer
      - .actual_access:  read_only
        .address_space:  global
        .offset:         24
        .size:           8
        .value_kind:     global_buffer
      - .offset:         32
        .size:           4
        .value_kind:     by_value
      - .offset:         36
        .size:           1
        .value_kind:     by_value
      - .offset:         40
        .size:           4
        .value_kind:     by_value
      - .actual_access:  read_only
        .address_space:  global
        .offset:         48
        .size:           8
        .value_kind:     global_buffer
      - .actual_access:  write_only
        .address_space:  global
        .offset:         56
        .size:           8
        .value_kind:     global_buffer
      - .actual_access:  write_only
        .address_space:  global
        .offset:         64
        .size:           8
        .value_kind:     global_buffer
      - .offset:         72
        .size:           4
        .value_kind:     by_value
      - .offset:         80
        .size:           4
        .value_kind:     hidden_block_count_x
      - .offset:         84
        .size:           4
        .value_kind:     hidden_block_count_y
      - .offset:         88
        .size:           4
        .value_kind:     hidden_block_count_z
      - .offset:         92
        .size:           2
        .value_kind:     hidden_group_size_x
      - .offset:         94
        .size:           2
        .value_kind:     hidden_group_size_y
      - .offset:         96
        .size:           2
        .value_kind:     hidden_group_size_z
      - .offset:         98
        .size:           2
        .value_kind:     hidden_remainder_x
      - .offset:         100
        .size:           2
        .value_kind:     hidden_remainder_y
      - .offset:         102
        .size:           2
        .value_kind:     hidden_remainder_z
      - .offset:         120
        .size:           8
        .value_kind:     hidden_global_offset_x
      - .offset:         128
        .size:           8
        .value_kind:     hidden_global_offset_y
      - .offset:         136
        .size:           8
        .value_kind:     hidden_global_offset_z
      - .offset:         144
        .size:           2
        .value_kind:     hidden_grid_dims
    .group_segment_fixed_size: 0
    .kernarg_segment_align: 8
    .kernarg_segment_size: 336
    .language:       OpenCL C
    .language_version:
      - 2
      - 0
    .max_flat_workgroup_size: 1024
    .name:           _ZN9rocsparseL28internal_extract_fill_kernelILj1024EallEEvT2_PKT1_PKS1_PKT0_21rocsparse_index_base_b20rocsparse_diag_type_S4_PS1_PS7_SA_
    .private_segment_fixed_size: 0
    .sgpr_count:     21
    .sgpr_spill_count: 0
    .symbol:         _ZN9rocsparseL28internal_extract_fill_kernelILj1024EallEEvT2_PKT1_PKS1_PKT0_21rocsparse_index_base_b20rocsparse_diag_type_S4_PS1_PS7_SA_.kd
    .uniform_work_group_size: 1
    .uses_dynamic_stack: false
    .vgpr_count:     19
    .vgpr_spill_count: 0
    .wavefront_size: 32
  - .args:
      - .offset:         0
        .size:           4
        .value_kind:     by_value
      - .actual_access:  read_only
        .address_space:  global
        .offset:         8
        .size:           8
        .value_kind:     global_buffer
      - .actual_access:  read_only
        .address_space:  global
        .offset:         16
        .size:           8
        .value_kind:     global_buffer
      - .actual_access:  read_only
        .address_space:  global
        .offset:         24
        .size:           8
        .value_kind:     global_buffer
      - .offset:         32
        .size:           4
        .value_kind:     by_value
      - .offset:         36
        .size:           1
        .value_kind:     by_value
      - .offset:         40
        .size:           4
        .value_kind:     by_value
      - .actual_access:  read_only
        .address_space:  global
        .offset:         48
        .size:           8
        .value_kind:     global_buffer
      - .actual_access:  write_only
        .address_space:  global
        .offset:         56
        .size:           8
        .value_kind:     global_buffer
      - .actual_access:  write_only
        .address_space:  global
        .offset:         64
        .size:           8
        .value_kind:     global_buffer
      - .offset:         72
        .size:           4
        .value_kind:     by_value
      - .offset:         80
        .size:           4
        .value_kind:     hidden_block_count_x
      - .offset:         84
        .size:           4
        .value_kind:     hidden_block_count_y
      - .offset:         88
        .size:           4
        .value_kind:     hidden_block_count_z
      - .offset:         92
        .size:           2
        .value_kind:     hidden_group_size_x
      - .offset:         94
        .size:           2
        .value_kind:     hidden_group_size_y
      - .offset:         96
        .size:           2
        .value_kind:     hidden_group_size_z
      - .offset:         98
        .size:           2
        .value_kind:     hidden_remainder_x
      - .offset:         100
        .size:           2
        .value_kind:     hidden_remainder_y
      - .offset:         102
        .size:           2
        .value_kind:     hidden_remainder_z
      - .offset:         120
        .size:           8
        .value_kind:     hidden_global_offset_x
      - .offset:         128
        .size:           8
        .value_kind:     hidden_global_offset_y
      - .offset:         136
        .size:           8
        .value_kind:     hidden_global_offset_z
      - .offset:         144
        .size:           2
        .value_kind:     hidden_grid_dims
    .group_segment_fixed_size: 0
    .kernarg_segment_align: 8
    .kernarg_segment_size: 336
    .language:       OpenCL C
    .language_version:
      - 2
      - 0
    .max_flat_workgroup_size: 1024
    .name:           _ZN9rocsparseL28internal_extract_fill_kernelILj1024EhiiEEvT2_PKT1_PKS1_PKT0_21rocsparse_index_base_b20rocsparse_diag_type_S4_PS1_PS7_SA_
    .private_segment_fixed_size: 0
    .sgpr_count:     22
    .sgpr_spill_count: 0
    .symbol:         _ZN9rocsparseL28internal_extract_fill_kernelILj1024EhiiEEvT2_PKT1_PKS1_PKT0_21rocsparse_index_base_b20rocsparse_diag_type_S4_PS1_PS7_SA_.kd
    .uniform_work_group_size: 1
    .uses_dynamic_stack: false
    .vgpr_count:     11
    .vgpr_spill_count: 0
    .wavefront_size: 32
  - .args:
      - .offset:         0
        .size:           8
        .value_kind:     by_value
      - .actual_access:  read_only
        .address_space:  global
        .offset:         8
        .size:           8
        .value_kind:     global_buffer
      - .actual_access:  read_only
        .address_space:  global
        .offset:         16
        .size:           8
        .value_kind:     global_buffer
      - .actual_access:  read_only
        .address_space:  global
        .offset:         24
        .size:           8
        .value_kind:     global_buffer
      - .offset:         32
        .size:           4
        .value_kind:     by_value
      - .offset:         36
        .size:           1
        .value_kind:     by_value
      - .offset:         40
        .size:           4
        .value_kind:     by_value
      - .actual_access:  read_only
        .address_space:  global
        .offset:         48
        .size:           8
        .value_kind:     global_buffer
      - .actual_access:  write_only
        .address_space:  global
        .offset:         56
        .size:           8
        .value_kind:     global_buffer
      - .actual_access:  write_only
        .address_space:  global
        .offset:         64
        .size:           8
        .value_kind:     global_buffer
      - .offset:         72
        .size:           4
        .value_kind:     by_value
      - .offset:         80
        .size:           4
        .value_kind:     hidden_block_count_x
      - .offset:         84
        .size:           4
        .value_kind:     hidden_block_count_y
      - .offset:         88
        .size:           4
        .value_kind:     hidden_block_count_z
      - .offset:         92
        .size:           2
        .value_kind:     hidden_group_size_x
      - .offset:         94
        .size:           2
        .value_kind:     hidden_group_size_y
      - .offset:         96
        .size:           2
        .value_kind:     hidden_group_size_z
      - .offset:         98
        .size:           2
        .value_kind:     hidden_remainder_x
      - .offset:         100
        .size:           2
        .value_kind:     hidden_remainder_y
      - .offset:         102
        .size:           2
        .value_kind:     hidden_remainder_z
      - .offset:         120
        .size:           8
        .value_kind:     hidden_global_offset_x
      - .offset:         128
        .size:           8
        .value_kind:     hidden_global_offset_y
      - .offset:         136
        .size:           8
        .value_kind:     hidden_global_offset_z
      - .offset:         144
        .size:           2
        .value_kind:     hidden_grid_dims
    .group_segment_fixed_size: 0
    .kernarg_segment_align: 8
    .kernarg_segment_size: 336
    .language:       OpenCL C
    .language_version:
      - 2
      - 0
    .max_flat_workgroup_size: 1024
    .name:           _ZN9rocsparseL28internal_extract_fill_kernelILj1024EhilEEvT2_PKT1_PKS1_PKT0_21rocsparse_index_base_b20rocsparse_diag_type_S4_PS1_PS7_SA_
    .private_segment_fixed_size: 0
    .sgpr_count:     22
    .sgpr_spill_count: 0
    .symbol:         _ZN9rocsparseL28internal_extract_fill_kernelILj1024EhilEEvT2_PKT1_PKS1_PKT0_21rocsparse_index_base_b20rocsparse_diag_type_S4_PS1_PS7_SA_.kd
    .uniform_work_group_size: 1
    .uses_dynamic_stack: false
    .vgpr_count:     13
    .vgpr_spill_count: 0
    .wavefront_size: 32
  - .args:
      - .offset:         0
        .size:           4
        .value_kind:     by_value
      - .actual_access:  read_only
        .address_space:  global
        .offset:         8
        .size:           8
        .value_kind:     global_buffer
      - .actual_access:  read_only
        .address_space:  global
        .offset:         16
        .size:           8
        .value_kind:     global_buffer
      - .actual_access:  read_only
        .address_space:  global
        .offset:         24
        .size:           8
        .value_kind:     global_buffer
      - .offset:         32
        .size:           4
        .value_kind:     by_value
      - .offset:         36
        .size:           1
        .value_kind:     by_value
      - .offset:         40
        .size:           4
        .value_kind:     by_value
      - .actual_access:  read_only
        .address_space:  global
        .offset:         48
        .size:           8
        .value_kind:     global_buffer
      - .actual_access:  write_only
        .address_space:  global
        .offset:         56
        .size:           8
        .value_kind:     global_buffer
      - .actual_access:  write_only
        .address_space:  global
        .offset:         64
        .size:           8
        .value_kind:     global_buffer
      - .offset:         72
        .size:           4
        .value_kind:     by_value
      - .offset:         80
        .size:           4
        .value_kind:     hidden_block_count_x
      - .offset:         84
        .size:           4
        .value_kind:     hidden_block_count_y
      - .offset:         88
        .size:           4
        .value_kind:     hidden_block_count_z
      - .offset:         92
        .size:           2
        .value_kind:     hidden_group_size_x
      - .offset:         94
        .size:           2
        .value_kind:     hidden_group_size_y
      - .offset:         96
        .size:           2
        .value_kind:     hidden_group_size_z
      - .offset:         98
        .size:           2
        .value_kind:     hidden_remainder_x
      - .offset:         100
        .size:           2
        .value_kind:     hidden_remainder_y
      - .offset:         102
        .size:           2
        .value_kind:     hidden_remainder_z
      - .offset:         120
        .size:           8
        .value_kind:     hidden_global_offset_x
      - .offset:         128
        .size:           8
        .value_kind:     hidden_global_offset_y
      - .offset:         136
        .size:           8
        .value_kind:     hidden_global_offset_z
      - .offset:         144
        .size:           2
        .value_kind:     hidden_grid_dims
    .group_segment_fixed_size: 0
    .kernarg_segment_align: 8
    .kernarg_segment_size: 336
    .language:       OpenCL C
    .language_version:
      - 2
      - 0
    .max_flat_workgroup_size: 1024
    .name:           _ZN9rocsparseL28internal_extract_fill_kernelILj1024EhliEEvT2_PKT1_PKS1_PKT0_21rocsparse_index_base_b20rocsparse_diag_type_S4_PS1_PS7_SA_
    .private_segment_fixed_size: 0
    .sgpr_count:     21
    .sgpr_spill_count: 0
    .symbol:         _ZN9rocsparseL28internal_extract_fill_kernelILj1024EhliEEvT2_PKT1_PKS1_PKT0_21rocsparse_index_base_b20rocsparse_diag_type_S4_PS1_PS7_SA_.kd
    .uniform_work_group_size: 1
    .uses_dynamic_stack: false
    .vgpr_count:     17
    .vgpr_spill_count: 0
    .wavefront_size: 32
  - .args:
      - .offset:         0
        .size:           8
        .value_kind:     by_value
      - .actual_access:  read_only
        .address_space:  global
        .offset:         8
        .size:           8
        .value_kind:     global_buffer
      - .actual_access:  read_only
        .address_space:  global
        .offset:         16
        .size:           8
        .value_kind:     global_buffer
      - .actual_access:  read_only
        .address_space:  global
        .offset:         24
        .size:           8
        .value_kind:     global_buffer
      - .offset:         32
        .size:           4
        .value_kind:     by_value
      - .offset:         36
        .size:           1
        .value_kind:     by_value
      - .offset:         40
        .size:           4
        .value_kind:     by_value
      - .actual_access:  read_only
        .address_space:  global
        .offset:         48
        .size:           8
        .value_kind:     global_buffer
      - .actual_access:  write_only
        .address_space:  global
        .offset:         56
        .size:           8
        .value_kind:     global_buffer
      - .actual_access:  write_only
        .address_space:  global
        .offset:         64
        .size:           8
        .value_kind:     global_buffer
      - .offset:         72
        .size:           4
        .value_kind:     by_value
      - .offset:         80
        .size:           4
        .value_kind:     hidden_block_count_x
      - .offset:         84
        .size:           4
        .value_kind:     hidden_block_count_y
      - .offset:         88
        .size:           4
        .value_kind:     hidden_block_count_z
      - .offset:         92
        .size:           2
        .value_kind:     hidden_group_size_x
      - .offset:         94
        .size:           2
        .value_kind:     hidden_group_size_y
      - .offset:         96
        .size:           2
        .value_kind:     hidden_group_size_z
      - .offset:         98
        .size:           2
        .value_kind:     hidden_remainder_x
      - .offset:         100
        .size:           2
        .value_kind:     hidden_remainder_y
      - .offset:         102
        .size:           2
        .value_kind:     hidden_remainder_z
      - .offset:         120
        .size:           8
        .value_kind:     hidden_global_offset_x
      - .offset:         128
        .size:           8
        .value_kind:     hidden_global_offset_y
      - .offset:         136
        .size:           8
        .value_kind:     hidden_global_offset_z
      - .offset:         144
        .size:           2
        .value_kind:     hidden_grid_dims
    .group_segment_fixed_size: 0
    .kernarg_segment_align: 8
    .kernarg_segment_size: 336
    .language:       OpenCL C
    .language_version:
      - 2
      - 0
    .max_flat_workgroup_size: 1024
    .name:           _ZN9rocsparseL28internal_extract_fill_kernelILj1024EhllEEvT2_PKT1_PKS1_PKT0_21rocsparse_index_base_b20rocsparse_diag_type_S4_PS1_PS7_SA_
    .private_segment_fixed_size: 0
    .sgpr_count:     21
    .sgpr_spill_count: 0
    .symbol:         _ZN9rocsparseL28internal_extract_fill_kernelILj1024EhllEEvT2_PKT1_PKS1_PKT0_21rocsparse_index_base_b20rocsparse_diag_type_S4_PS1_PS7_SA_.kd
    .uniform_work_group_size: 1
    .uses_dynamic_stack: false
    .vgpr_count:     19
    .vgpr_spill_count: 0
    .wavefront_size: 32
  - .args:
      - .offset:         0
        .size:           4
        .value_kind:     by_value
      - .actual_access:  read_only
        .address_space:  global
        .offset:         8
        .size:           8
        .value_kind:     global_buffer
      - .actual_access:  read_only
        .address_space:  global
        .offset:         16
        .size:           8
        .value_kind:     global_buffer
      - .actual_access:  read_only
        .address_space:  global
        .offset:         24
        .size:           8
        .value_kind:     global_buffer
      - .offset:         32
        .size:           4
        .value_kind:     by_value
      - .offset:         36
        .size:           1
        .value_kind:     by_value
      - .offset:         40
        .size:           4
        .value_kind:     by_value
      - .actual_access:  read_only
        .address_space:  global
        .offset:         48
        .size:           8
        .value_kind:     global_buffer
      - .actual_access:  write_only
        .address_space:  global
        .offset:         56
        .size:           8
        .value_kind:     global_buffer
      - .actual_access:  write_only
        .address_space:  global
        .offset:         64
        .size:           8
        .value_kind:     global_buffer
      - .offset:         72
        .size:           4
        .value_kind:     by_value
      - .offset:         80
        .size:           4
        .value_kind:     hidden_block_count_x
      - .offset:         84
        .size:           4
        .value_kind:     hidden_block_count_y
      - .offset:         88
        .size:           4
        .value_kind:     hidden_block_count_z
      - .offset:         92
        .size:           2
        .value_kind:     hidden_group_size_x
      - .offset:         94
        .size:           2
        .value_kind:     hidden_group_size_y
      - .offset:         96
        .size:           2
        .value_kind:     hidden_group_size_z
      - .offset:         98
        .size:           2
        .value_kind:     hidden_remainder_x
      - .offset:         100
        .size:           2
        .value_kind:     hidden_remainder_y
      - .offset:         102
        .size:           2
        .value_kind:     hidden_remainder_z
      - .offset:         120
        .size:           8
        .value_kind:     hidden_global_offset_x
      - .offset:         128
        .size:           8
        .value_kind:     hidden_global_offset_y
      - .offset:         136
        .size:           8
        .value_kind:     hidden_global_offset_z
      - .offset:         144
        .size:           2
        .value_kind:     hidden_grid_dims
    .group_segment_fixed_size: 0
    .kernarg_segment_align: 8
    .kernarg_segment_size: 336
    .language:       OpenCL C
    .language_version:
      - 2
      - 0
    .max_flat_workgroup_size: 1024
    .name:           _ZN9rocsparseL28internal_extract_fill_kernelILj1024EiiiEEvT2_PKT1_PKS1_PKT0_21rocsparse_index_base_b20rocsparse_diag_type_S4_PS1_PS7_SA_
    .private_segment_fixed_size: 0
    .sgpr_count:     22
    .sgpr_spill_count: 0
    .symbol:         _ZN9rocsparseL28internal_extract_fill_kernelILj1024EiiiEEvT2_PKT1_PKS1_PKT0_21rocsparse_index_base_b20rocsparse_diag_type_S4_PS1_PS7_SA_.kd
    .uniform_work_group_size: 1
    .uses_dynamic_stack: false
    .vgpr_count:     11
    .vgpr_spill_count: 0
    .wavefront_size: 32
  - .args:
      - .offset:         0
        .size:           8
        .value_kind:     by_value
      - .actual_access:  read_only
        .address_space:  global
        .offset:         8
        .size:           8
        .value_kind:     global_buffer
      - .actual_access:  read_only
        .address_space:  global
        .offset:         16
        .size:           8
        .value_kind:     global_buffer
      - .actual_access:  read_only
        .address_space:  global
        .offset:         24
        .size:           8
        .value_kind:     global_buffer
      - .offset:         32
        .size:           4
        .value_kind:     by_value
      - .offset:         36
        .size:           1
        .value_kind:     by_value
      - .offset:         40
        .size:           4
        .value_kind:     by_value
      - .actual_access:  read_only
        .address_space:  global
        .offset:         48
        .size:           8
        .value_kind:     global_buffer
      - .actual_access:  write_only
        .address_space:  global
        .offset:         56
        .size:           8
        .value_kind:     global_buffer
      - .actual_access:  write_only
        .address_space:  global
        .offset:         64
        .size:           8
        .value_kind:     global_buffer
      - .offset:         72
        .size:           4
        .value_kind:     by_value
      - .offset:         80
        .size:           4
        .value_kind:     hidden_block_count_x
      - .offset:         84
        .size:           4
        .value_kind:     hidden_block_count_y
      - .offset:         88
        .size:           4
        .value_kind:     hidden_block_count_z
      - .offset:         92
        .size:           2
        .value_kind:     hidden_group_size_x
      - .offset:         94
        .size:           2
        .value_kind:     hidden_group_size_y
      - .offset:         96
        .size:           2
        .value_kind:     hidden_group_size_z
      - .offset:         98
        .size:           2
        .value_kind:     hidden_remainder_x
      - .offset:         100
        .size:           2
        .value_kind:     hidden_remainder_y
      - .offset:         102
        .size:           2
        .value_kind:     hidden_remainder_z
      - .offset:         120
        .size:           8
        .value_kind:     hidden_global_offset_x
      - .offset:         128
        .size:           8
        .value_kind:     hidden_global_offset_y
      - .offset:         136
        .size:           8
        .value_kind:     hidden_global_offset_z
      - .offset:         144
        .size:           2
        .value_kind:     hidden_grid_dims
    .group_segment_fixed_size: 0
    .kernarg_segment_align: 8
    .kernarg_segment_size: 336
    .language:       OpenCL C
    .language_version:
      - 2
      - 0
    .max_flat_workgroup_size: 1024
    .name:           _ZN9rocsparseL28internal_extract_fill_kernelILj1024EiilEEvT2_PKT1_PKS1_PKT0_21rocsparse_index_base_b20rocsparse_diag_type_S4_PS1_PS7_SA_
    .private_segment_fixed_size: 0
    .sgpr_count:     22
    .sgpr_spill_count: 0
    .symbol:         _ZN9rocsparseL28internal_extract_fill_kernelILj1024EiilEEvT2_PKT1_PKS1_PKT0_21rocsparse_index_base_b20rocsparse_diag_type_S4_PS1_PS7_SA_.kd
    .uniform_work_group_size: 1
    .uses_dynamic_stack: false
    .vgpr_count:     13
    .vgpr_spill_count: 0
    .wavefront_size: 32
  - .args:
      - .offset:         0
        .size:           4
        .value_kind:     by_value
      - .actual_access:  read_only
        .address_space:  global
        .offset:         8
        .size:           8
        .value_kind:     global_buffer
      - .actual_access:  read_only
        .address_space:  global
        .offset:         16
        .size:           8
        .value_kind:     global_buffer
      - .actual_access:  read_only
        .address_space:  global
        .offset:         24
        .size:           8
        .value_kind:     global_buffer
      - .offset:         32
        .size:           4
        .value_kind:     by_value
      - .offset:         36
        .size:           1
        .value_kind:     by_value
      - .offset:         40
        .size:           4
        .value_kind:     by_value
      - .actual_access:  read_only
        .address_space:  global
        .offset:         48
        .size:           8
        .value_kind:     global_buffer
      - .actual_access:  write_only
        .address_space:  global
        .offset:         56
        .size:           8
        .value_kind:     global_buffer
      - .actual_access:  write_only
        .address_space:  global
        .offset:         64
        .size:           8
        .value_kind:     global_buffer
      - .offset:         72
        .size:           4
        .value_kind:     by_value
      - .offset:         80
        .size:           4
        .value_kind:     hidden_block_count_x
      - .offset:         84
        .size:           4
        .value_kind:     hidden_block_count_y
      - .offset:         88
        .size:           4
        .value_kind:     hidden_block_count_z
      - .offset:         92
        .size:           2
        .value_kind:     hidden_group_size_x
      - .offset:         94
        .size:           2
        .value_kind:     hidden_group_size_y
      - .offset:         96
        .size:           2
        .value_kind:     hidden_group_size_z
      - .offset:         98
        .size:           2
        .value_kind:     hidden_remainder_x
      - .offset:         100
        .size:           2
        .value_kind:     hidden_remainder_y
      - .offset:         102
        .size:           2
        .value_kind:     hidden_remainder_z
      - .offset:         120
        .size:           8
        .value_kind:     hidden_global_offset_x
      - .offset:         128
        .size:           8
        .value_kind:     hidden_global_offset_y
      - .offset:         136
        .size:           8
        .value_kind:     hidden_global_offset_z
      - .offset:         144
        .size:           2
        .value_kind:     hidden_grid_dims
    .group_segment_fixed_size: 0
    .kernarg_segment_align: 8
    .kernarg_segment_size: 336
    .language:       OpenCL C
    .language_version:
      - 2
      - 0
    .max_flat_workgroup_size: 1024
    .name:           _ZN9rocsparseL28internal_extract_fill_kernelILj1024EiliEEvT2_PKT1_PKS1_PKT0_21rocsparse_index_base_b20rocsparse_diag_type_S4_PS1_PS7_SA_
    .private_segment_fixed_size: 0
    .sgpr_count:     22
    .sgpr_spill_count: 0
    .symbol:         _ZN9rocsparseL28internal_extract_fill_kernelILj1024EiliEEvT2_PKT1_PKS1_PKT0_21rocsparse_index_base_b20rocsparse_diag_type_S4_PS1_PS7_SA_.kd
    .uniform_work_group_size: 1
    .uses_dynamic_stack: false
    .vgpr_count:     17
    .vgpr_spill_count: 0
    .wavefront_size: 32
  - .args:
      - .offset:         0
        .size:           8
        .value_kind:     by_value
      - .actual_access:  read_only
        .address_space:  global
        .offset:         8
        .size:           8
        .value_kind:     global_buffer
      - .actual_access:  read_only
        .address_space:  global
        .offset:         16
        .size:           8
        .value_kind:     global_buffer
      - .actual_access:  read_only
        .address_space:  global
        .offset:         24
        .size:           8
        .value_kind:     global_buffer
      - .offset:         32
        .size:           4
        .value_kind:     by_value
      - .offset:         36
        .size:           1
        .value_kind:     by_value
      - .offset:         40
        .size:           4
        .value_kind:     by_value
      - .actual_access:  read_only
        .address_space:  global
        .offset:         48
        .size:           8
        .value_kind:     global_buffer
      - .actual_access:  write_only
        .address_space:  global
        .offset:         56
        .size:           8
        .value_kind:     global_buffer
      - .actual_access:  write_only
        .address_space:  global
        .offset:         64
        .size:           8
        .value_kind:     global_buffer
      - .offset:         72
        .size:           4
        .value_kind:     by_value
      - .offset:         80
        .size:           4
        .value_kind:     hidden_block_count_x
      - .offset:         84
        .size:           4
        .value_kind:     hidden_block_count_y
      - .offset:         88
        .size:           4
        .value_kind:     hidden_block_count_z
      - .offset:         92
        .size:           2
        .value_kind:     hidden_group_size_x
      - .offset:         94
        .size:           2
        .value_kind:     hidden_group_size_y
      - .offset:         96
        .size:           2
        .value_kind:     hidden_group_size_z
      - .offset:         98
        .size:           2
        .value_kind:     hidden_remainder_x
      - .offset:         100
        .size:           2
        .value_kind:     hidden_remainder_y
      - .offset:         102
        .size:           2
        .value_kind:     hidden_remainder_z
      - .offset:         120
        .size:           8
        .value_kind:     hidden_global_offset_x
      - .offset:         128
        .size:           8
        .value_kind:     hidden_global_offset_y
      - .offset:         136
        .size:           8
        .value_kind:     hidden_global_offset_z
      - .offset:         144
        .size:           2
        .value_kind:     hidden_grid_dims
    .group_segment_fixed_size: 0
    .kernarg_segment_align: 8
    .kernarg_segment_size: 336
    .language:       OpenCL C
    .language_version:
      - 2
      - 0
    .max_flat_workgroup_size: 1024
    .name:           _ZN9rocsparseL28internal_extract_fill_kernelILj1024EillEEvT2_PKT1_PKS1_PKT0_21rocsparse_index_base_b20rocsparse_diag_type_S4_PS1_PS7_SA_
    .private_segment_fixed_size: 0
    .sgpr_count:     22
    .sgpr_spill_count: 0
    .symbol:         _ZN9rocsparseL28internal_extract_fill_kernelILj1024EillEEvT2_PKT1_PKS1_PKT0_21rocsparse_index_base_b20rocsparse_diag_type_S4_PS1_PS7_SA_.kd
    .uniform_work_group_size: 1
    .uses_dynamic_stack: false
    .vgpr_count:     21
    .vgpr_spill_count: 0
    .wavefront_size: 32
  - .args:
      - .offset:         0
        .size:           4
        .value_kind:     by_value
      - .actual_access:  read_only
        .address_space:  global
        .offset:         8
        .size:           8
        .value_kind:     global_buffer
      - .actual_access:  read_only
        .address_space:  global
        .offset:         16
        .size:           8
        .value_kind:     global_buffer
      - .actual_access:  read_only
        .address_space:  global
        .offset:         24
        .size:           8
        .value_kind:     global_buffer
      - .offset:         32
        .size:           4
        .value_kind:     by_value
      - .offset:         36
        .size:           1
        .value_kind:     by_value
      - .offset:         40
        .size:           4
        .value_kind:     by_value
      - .actual_access:  read_only
        .address_space:  global
        .offset:         48
        .size:           8
        .value_kind:     global_buffer
      - .actual_access:  write_only
        .address_space:  global
        .offset:         56
        .size:           8
        .value_kind:     global_buffer
      - .actual_access:  write_only
        .address_space:  global
        .offset:         64
        .size:           8
        .value_kind:     global_buffer
      - .offset:         72
        .size:           4
        .value_kind:     by_value
      - .offset:         80
        .size:           4
        .value_kind:     hidden_block_count_x
      - .offset:         84
        .size:           4
        .value_kind:     hidden_block_count_y
      - .offset:         88
        .size:           4
        .value_kind:     hidden_block_count_z
      - .offset:         92
        .size:           2
        .value_kind:     hidden_group_size_x
      - .offset:         94
        .size:           2
        .value_kind:     hidden_group_size_y
      - .offset:         96
        .size:           2
        .value_kind:     hidden_group_size_z
      - .offset:         98
        .size:           2
        .value_kind:     hidden_remainder_x
      - .offset:         100
        .size:           2
        .value_kind:     hidden_remainder_y
      - .offset:         102
        .size:           2
        .value_kind:     hidden_remainder_z
      - .offset:         120
        .size:           8
        .value_kind:     hidden_global_offset_x
      - .offset:         128
        .size:           8
        .value_kind:     hidden_global_offset_y
      - .offset:         136
        .size:           8
        .value_kind:     hidden_global_offset_z
      - .offset:         144
        .size:           2
        .value_kind:     hidden_grid_dims
    .group_segment_fixed_size: 0
    .kernarg_segment_align: 8
    .kernarg_segment_size: 336
    .language:       OpenCL C
    .language_version:
      - 2
      - 0
    .max_flat_workgroup_size: 1024
    .name:           _ZN9rocsparseL28internal_extract_fill_kernelILj1024EjiiEEvT2_PKT1_PKS1_PKT0_21rocsparse_index_base_b20rocsparse_diag_type_S4_PS1_PS7_SA_
    .private_segment_fixed_size: 0
    .sgpr_count:     22
    .sgpr_spill_count: 0
    .symbol:         _ZN9rocsparseL28internal_extract_fill_kernelILj1024EjiiEEvT2_PKT1_PKS1_PKT0_21rocsparse_index_base_b20rocsparse_diag_type_S4_PS1_PS7_SA_.kd
    .uniform_work_group_size: 1
    .uses_dynamic_stack: false
    .vgpr_count:     11
    .vgpr_spill_count: 0
    .wavefront_size: 32
  - .args:
      - .offset:         0
        .size:           8
        .value_kind:     by_value
      - .actual_access:  read_only
        .address_space:  global
        .offset:         8
        .size:           8
        .value_kind:     global_buffer
      - .actual_access:  read_only
        .address_space:  global
        .offset:         16
        .size:           8
        .value_kind:     global_buffer
      - .actual_access:  read_only
        .address_space:  global
        .offset:         24
        .size:           8
        .value_kind:     global_buffer
      - .offset:         32
        .size:           4
        .value_kind:     by_value
      - .offset:         36
        .size:           1
        .value_kind:     by_value
      - .offset:         40
        .size:           4
        .value_kind:     by_value
      - .actual_access:  read_only
        .address_space:  global
        .offset:         48
        .size:           8
        .value_kind:     global_buffer
      - .actual_access:  write_only
        .address_space:  global
        .offset:         56
        .size:           8
        .value_kind:     global_buffer
      - .actual_access:  write_only
        .address_space:  global
        .offset:         64
        .size:           8
        .value_kind:     global_buffer
      - .offset:         72
        .size:           4
        .value_kind:     by_value
      - .offset:         80
        .size:           4
        .value_kind:     hidden_block_count_x
      - .offset:         84
        .size:           4
        .value_kind:     hidden_block_count_y
      - .offset:         88
        .size:           4
        .value_kind:     hidden_block_count_z
      - .offset:         92
        .size:           2
        .value_kind:     hidden_group_size_x
      - .offset:         94
        .size:           2
        .value_kind:     hidden_group_size_y
      - .offset:         96
        .size:           2
        .value_kind:     hidden_group_size_z
      - .offset:         98
        .size:           2
        .value_kind:     hidden_remainder_x
      - .offset:         100
        .size:           2
        .value_kind:     hidden_remainder_y
      - .offset:         102
        .size:           2
        .value_kind:     hidden_remainder_z
      - .offset:         120
        .size:           8
        .value_kind:     hidden_global_offset_x
      - .offset:         128
        .size:           8
        .value_kind:     hidden_global_offset_y
      - .offset:         136
        .size:           8
        .value_kind:     hidden_global_offset_z
      - .offset:         144
        .size:           2
        .value_kind:     hidden_grid_dims
    .group_segment_fixed_size: 0
    .kernarg_segment_align: 8
    .kernarg_segment_size: 336
    .language:       OpenCL C
    .language_version:
      - 2
      - 0
    .max_flat_workgroup_size: 1024
    .name:           _ZN9rocsparseL28internal_extract_fill_kernelILj1024EjilEEvT2_PKT1_PKS1_PKT0_21rocsparse_index_base_b20rocsparse_diag_type_S4_PS1_PS7_SA_
    .private_segment_fixed_size: 0
    .sgpr_count:     22
    .sgpr_spill_count: 0
    .symbol:         _ZN9rocsparseL28internal_extract_fill_kernelILj1024EjilEEvT2_PKT1_PKS1_PKT0_21rocsparse_index_base_b20rocsparse_diag_type_S4_PS1_PS7_SA_.kd
    .uniform_work_group_size: 1
    .uses_dynamic_stack: false
    .vgpr_count:     13
    .vgpr_spill_count: 0
    .wavefront_size: 32
  - .args:
      - .offset:         0
        .size:           4
        .value_kind:     by_value
      - .actual_access:  read_only
        .address_space:  global
        .offset:         8
        .size:           8
        .value_kind:     global_buffer
      - .actual_access:  read_only
        .address_space:  global
        .offset:         16
        .size:           8
        .value_kind:     global_buffer
      - .actual_access:  read_only
        .address_space:  global
        .offset:         24
        .size:           8
        .value_kind:     global_buffer
      - .offset:         32
        .size:           4
        .value_kind:     by_value
      - .offset:         36
        .size:           1
        .value_kind:     by_value
      - .offset:         40
        .size:           4
        .value_kind:     by_value
      - .actual_access:  read_only
        .address_space:  global
        .offset:         48
        .size:           8
        .value_kind:     global_buffer
      - .actual_access:  write_only
        .address_space:  global
        .offset:         56
        .size:           8
        .value_kind:     global_buffer
      - .actual_access:  write_only
        .address_space:  global
        .offset:         64
        .size:           8
        .value_kind:     global_buffer
      - .offset:         72
        .size:           4
        .value_kind:     by_value
      - .offset:         80
        .size:           4
        .value_kind:     hidden_block_count_x
      - .offset:         84
        .size:           4
        .value_kind:     hidden_block_count_y
      - .offset:         88
        .size:           4
        .value_kind:     hidden_block_count_z
      - .offset:         92
        .size:           2
        .value_kind:     hidden_group_size_x
      - .offset:         94
        .size:           2
        .value_kind:     hidden_group_size_y
      - .offset:         96
        .size:           2
        .value_kind:     hidden_group_size_z
      - .offset:         98
        .size:           2
        .value_kind:     hidden_remainder_x
      - .offset:         100
        .size:           2
        .value_kind:     hidden_remainder_y
      - .offset:         102
        .size:           2
        .value_kind:     hidden_remainder_z
      - .offset:         120
        .size:           8
        .value_kind:     hidden_global_offset_x
      - .offset:         128
        .size:           8
        .value_kind:     hidden_global_offset_y
      - .offset:         136
        .size:           8
        .value_kind:     hidden_global_offset_z
      - .offset:         144
        .size:           2
        .value_kind:     hidden_grid_dims
    .group_segment_fixed_size: 0
    .kernarg_segment_align: 8
    .kernarg_segment_size: 336
    .language:       OpenCL C
    .language_version:
      - 2
      - 0
    .max_flat_workgroup_size: 1024
    .name:           _ZN9rocsparseL28internal_extract_fill_kernelILj1024EjliEEvT2_PKT1_PKS1_PKT0_21rocsparse_index_base_b20rocsparse_diag_type_S4_PS1_PS7_SA_
    .private_segment_fixed_size: 0
    .sgpr_count:     22
    .sgpr_spill_count: 0
    .symbol:         _ZN9rocsparseL28internal_extract_fill_kernelILj1024EjliEEvT2_PKT1_PKS1_PKT0_21rocsparse_index_base_b20rocsparse_diag_type_S4_PS1_PS7_SA_.kd
    .uniform_work_group_size: 1
    .uses_dynamic_stack: false
    .vgpr_count:     17
    .vgpr_spill_count: 0
    .wavefront_size: 32
  - .args:
      - .offset:         0
        .size:           8
        .value_kind:     by_value
      - .actual_access:  read_only
        .address_space:  global
        .offset:         8
        .size:           8
        .value_kind:     global_buffer
      - .actual_access:  read_only
        .address_space:  global
        .offset:         16
        .size:           8
        .value_kind:     global_buffer
      - .actual_access:  read_only
        .address_space:  global
        .offset:         24
        .size:           8
        .value_kind:     global_buffer
      - .offset:         32
        .size:           4
        .value_kind:     by_value
      - .offset:         36
        .size:           1
        .value_kind:     by_value
      - .offset:         40
        .size:           4
        .value_kind:     by_value
      - .actual_access:  read_only
        .address_space:  global
        .offset:         48
        .size:           8
        .value_kind:     global_buffer
      - .actual_access:  write_only
        .address_space:  global
        .offset:         56
        .size:           8
        .value_kind:     global_buffer
      - .actual_access:  write_only
        .address_space:  global
        .offset:         64
        .size:           8
        .value_kind:     global_buffer
      - .offset:         72
        .size:           4
        .value_kind:     by_value
      - .offset:         80
        .size:           4
        .value_kind:     hidden_block_count_x
      - .offset:         84
        .size:           4
        .value_kind:     hidden_block_count_y
      - .offset:         88
        .size:           4
        .value_kind:     hidden_block_count_z
      - .offset:         92
        .size:           2
        .value_kind:     hidden_group_size_x
      - .offset:         94
        .size:           2
        .value_kind:     hidden_group_size_y
      - .offset:         96
        .size:           2
        .value_kind:     hidden_group_size_z
      - .offset:         98
        .size:           2
        .value_kind:     hidden_remainder_x
      - .offset:         100
        .size:           2
        .value_kind:     hidden_remainder_y
      - .offset:         102
        .size:           2
        .value_kind:     hidden_remainder_z
      - .offset:         120
        .size:           8
        .value_kind:     hidden_global_offset_x
      - .offset:         128
        .size:           8
        .value_kind:     hidden_global_offset_y
      - .offset:         136
        .size:           8
        .value_kind:     hidden_global_offset_z
      - .offset:         144
        .size:           2
        .value_kind:     hidden_grid_dims
    .group_segment_fixed_size: 0
    .kernarg_segment_align: 8
    .kernarg_segment_size: 336
    .language:       OpenCL C
    .language_version:
      - 2
      - 0
    .max_flat_workgroup_size: 1024
    .name:           _ZN9rocsparseL28internal_extract_fill_kernelILj1024EjllEEvT2_PKT1_PKS1_PKT0_21rocsparse_index_base_b20rocsparse_diag_type_S4_PS1_PS7_SA_
    .private_segment_fixed_size: 0
    .sgpr_count:     22
    .sgpr_spill_count: 0
    .symbol:         _ZN9rocsparseL28internal_extract_fill_kernelILj1024EjllEEvT2_PKT1_PKS1_PKT0_21rocsparse_index_base_b20rocsparse_diag_type_S4_PS1_PS7_SA_.kd
    .uniform_work_group_size: 1
    .uses_dynamic_stack: false
    .vgpr_count:     21
    .vgpr_spill_count: 0
    .wavefront_size: 32
amdhsa.target:   amdgcn-amd-amdhsa--gfx1250
amdhsa.version:
  - 1
  - 2
...

	.end_amdgpu_metadata
